;; amdgpu-corpus repo=ROCm/rocFFT kind=compiled arch=gfx1201 opt=O3
	.text
	.amdgcn_target "amdgcn-amd-amdhsa--gfx1201"
	.amdhsa_code_object_version 6
	.protected	bluestein_single_back_len4704_dim1_half_op_CI_CI ; -- Begin function bluestein_single_back_len4704_dim1_half_op_CI_CI
	.globl	bluestein_single_back_len4704_dim1_half_op_CI_CI
	.p2align	8
	.type	bluestein_single_back_len4704_dim1_half_op_CI_CI,@function
bluestein_single_back_len4704_dim1_half_op_CI_CI: ; @bluestein_single_back_len4704_dim1_half_op_CI_CI
; %bb.0:
	s_load_b128 s[12:15], s[0:1], 0x28
	v_mul_u32_u24_e32 v1, 0x125, v0
	s_mov_b32 s2, exec_lo
	v_mov_b32_e32 v18, 0
	s_delay_alu instid0(VALU_DEP_2) | instskip(NEXT) | instid1(VALU_DEP_1)
	v_lshrrev_b32_e32 v1, 16, v1
	v_add_nc_u32_e32 v17, ttmp9, v1
	s_wait_kmcnt 0x0
	s_delay_alu instid0(VALU_DEP_1)
	v_cmpx_gt_u64_e64 s[12:13], v[17:18]
	s_cbranch_execz .LBB0_25
; %bb.1:
	s_clause 0x1
	s_load_b128 s[4:7], s[0:1], 0x18
	s_load_b64 s[12:13], s[0:1], 0x0
	v_mul_lo_u16 v1, 0xe0, v1
	s_delay_alu instid0(VALU_DEP_1) | instskip(NEXT) | instid1(VALU_DEP_1)
	v_sub_nc_u16 v7, v0, v1
	v_and_b32_e32 v82, 0xffff, v7
	s_wait_kmcnt 0x0
	s_load_b128 s[8:11], s[4:5], 0x0
	s_wait_kmcnt 0x0
	v_mad_co_u64_u32 v[0:1], null, s10, v17, 0
	v_mad_co_u64_u32 v[2:3], null, s8, v82, 0
	s_mul_u64 s[2:3], s[8:9], 0x24c
	s_delay_alu instid0(VALU_DEP_1) | instskip(SKIP_3) | instid1(SALU_CYCLE_1)
	v_mad_co_u64_u32 v[4:5], null, s11, v17, v[1:2]
	s_lshl_b64 s[10:11], s[2:3], 2
	s_movk_i32 s2, 0xf0cc
	s_mov_b32 s3, -1
	s_mul_u64 s[2:3], s[8:9], s[2:3]
	s_delay_alu instid0(VALU_DEP_1)
	v_mov_b32_e32 v1, v4
	v_mad_co_u64_u32 v[5:6], null, s9, v82, v[3:4]
	v_lshlrev_b32_e32 v57, 2, v82
	s_clause 0x2
	global_load_b32 v86, v57, s[12:13]
	global_load_b32 v78, v57, s[12:13] offset:9408
	global_load_b32 v65, v57, s[12:13] offset:7952
	v_mov_b32_e32 v3, v5
	v_lshlrev_b64_e32 v[0:1], 2, v[0:1]
	s_clause 0x8
	global_load_b32 v83, v57, s[12:13] offset:7056
	global_load_b32 v67, v57, s[12:13] offset:5600
	;; [unrolled: 1-line block ×9, first 2 shown]
	v_lshlrev_b64_e32 v[2:3], 2, v[2:3]
	s_clause 0x3
	global_load_b32 v76, v57, s[12:13] offset:14112
	global_load_b32 v62, v57, s[12:13] offset:12656
	;; [unrolled: 1-line block ×4, first 2 shown]
	v_add_co_u32 v0, vcc_lo, s14, v0
	v_add_co_ci_u32_e32 v1, vcc_lo, s15, v1, vcc_lo
	s_lshl_b64 s[14:15], s[2:3], 2
	s_delay_alu instid0(VALU_DEP_2) | instskip(SKIP_1) | instid1(VALU_DEP_2)
	v_add_co_u32 v0, vcc_lo, v0, v2
	s_wait_alu 0xfffd
	v_add_co_ci_u32_e32 v1, vcc_lo, v1, v3, vcc_lo
	v_cmp_lt_u16_e64 s2, 0x8b, v7
	s_wait_alu 0xfffe
	v_add_co_u32 v2, vcc_lo, v0, s10
	s_wait_alu 0xfffd
	v_add_co_ci_u32_e32 v3, vcc_lo, s11, v1, vcc_lo
	global_load_b32 v4, v[0:1], off
	s_load_b64 s[8:9], s[0:1], 0x38
	v_add_co_u32 v15, s3, s12, v57
	global_load_b32 v5, v[2:3], off
	v_add_co_u32 v0, vcc_lo, v2, s10
	s_wait_alu 0xfffd
	v_add_co_ci_u32_e32 v1, vcc_lo, s11, v3, vcc_lo
	v_add_co_ci_u32_e64 v16, null, s13, 0, s3
	s_delay_alu instid0(VALU_DEP_3) | instskip(SKIP_1) | instid1(VALU_DEP_3)
	v_add_co_u32 v2, vcc_lo, v0, s10
	s_wait_alu 0xfffd
	v_add_co_ci_u32_e32 v3, vcc_lo, s11, v1, vcc_lo
	s_clause 0x1
	global_load_b32 v6, v[0:1], off
	global_load_b32 v8, v[2:3], off
	v_add_co_u32 v0, vcc_lo, v2, s10
	s_wait_alu 0xfffd
	v_add_co_ci_u32_e32 v1, vcc_lo, s11, v3, vcc_lo
	s_delay_alu instid0(VALU_DEP_2) | instskip(SKIP_1) | instid1(VALU_DEP_2)
	v_add_co_u32 v2, vcc_lo, v0, s10
	s_wait_alu 0xfffd
	v_add_co_ci_u32_e32 v3, vcc_lo, s11, v1, vcc_lo
	global_load_b32 v9, v[0:1], off
	v_add_co_u32 v0, vcc_lo, v2, s10
	s_wait_alu 0xfffd
	v_add_co_ci_u32_e32 v1, vcc_lo, s11, v3, vcc_lo
	global_load_b32 v10, v[2:3], off
	;; [unrolled: 4-line block ×5, first 2 shown]
	global_load_b32 v14, v[2:3], off
	v_add_co_u32 v0, vcc_lo, v2, s10
	s_wait_alu 0xfffd
	v_add_co_ci_u32_e32 v1, vcc_lo, s11, v3, vcc_lo
	global_load_b32 v18, v[0:1], off
	v_add_co_u32 v0, vcc_lo, v0, s10
	s_wait_alu 0xfffd
	v_add_co_ci_u32_e32 v1, vcc_lo, s11, v1, vcc_lo
	s_delay_alu instid0(VALU_DEP_2) | instskip(SKIP_1) | instid1(VALU_DEP_2)
	v_add_co_u32 v2, vcc_lo, v0, s10
	s_wait_alu 0xfffd
	v_add_co_ci_u32_e32 v3, vcc_lo, s11, v1, vcc_lo
	global_load_b32 v19, v[0:1], off
	v_add_co_u32 v0, vcc_lo, v2, s10
	s_wait_alu 0xfffd
	v_add_co_ci_u32_e32 v1, vcc_lo, s11, v3, vcc_lo
	global_load_b32 v20, v[2:3], off
	;; [unrolled: 4-line block ×4, first 2 shown]
	global_load_b32 v3, v[0:1], off
	v_cmp_gt_u16_e32 vcc_lo, 0x8c, v7
	s_load_b128 s[4:7], s[6:7], 0x0
	s_wait_loadcnt 0x1f
	v_lshrrev_b32_e32 v90, 16, v86
	s_wait_loadcnt 0x1e
	v_lshrrev_b32_e32 v81, 16, v78
	;; [unrolled: 2-line block ×4, first 2 shown]
	v_lshrrev_b32_e32 v84, 16, v83
	s_wait_loadcnt 0x18
	v_lshrrev_b32_e32 v89, 16, v88
	s_wait_loadcnt 0x13
	v_lshrrev_b32_e32 v77, 16, v76
	v_lshrrev_b32_e32 v75, 16, v74
	s_wait_loadcnt 0x11
	v_lshrrev_b32_e32 v80, 16, v79
	v_lshrrev_b32_e32 v73, 16, v71
	;; [unrolled: 1-line block ×4, first 2 shown]
	s_wait_loadcnt 0x10
	v_lshrrev_b32_e32 v66, 16, v64
	v_lshrrev_b32_e32 v63, 16, v62
	;; [unrolled: 1-line block ×4, first 2 shown]
	s_wait_loadcnt 0xf
	v_lshrrev_b32_e32 v7, 16, v4
	v_mul_f16_e32 v22, v90, v4
	s_wait_loadcnt 0xe
	v_lshrrev_b32_e32 v24, 16, v5
	s_delay_alu instid0(VALU_DEP_3) | instskip(SKIP_2) | instid1(VALU_DEP_3)
	v_mul_f16_e32 v23, v90, v7
	v_mul_f16_e32 v25, v89, v5
	v_fma_f16 v7, v86, v7, -v22
	v_fmac_f16_e32 v23, v86, v4
	v_mul_f16_e32 v4, v89, v24
	s_delay_alu instid0(VALU_DEP_4) | instskip(NEXT) | instid1(VALU_DEP_3)
	v_fma_f16 v24, v88, v24, -v25
	v_pack_b32_f16 v7, v23, v7
	s_wait_loadcnt 0xd
	v_lshrrev_b32_e32 v22, 16, v6
	v_mul_f16_e32 v25, v87, v6
	v_fmac_f16_e32 v4, v88, v5
	s_wait_loadcnt 0xc
	v_lshrrev_b32_e32 v23, 16, v8
	v_mul_f16_e32 v5, v87, v22
	v_fma_f16 v22, v85, v22, -v25
	v_mul_f16_e32 v25, v84, v8
	v_pack_b32_f16 v4, v4, v24
	s_delay_alu instid0(VALU_DEP_4)
	v_fmac_f16_e32 v5, v85, v6
	v_mul_f16_e32 v6, v84, v23
	s_wait_loadcnt 0xb
	v_lshrrev_b32_e32 v24, 16, v9
	v_fma_f16 v23, v83, v23, -v25
	v_mul_f16_e32 v25, v81, v9
	v_pack_b32_f16 v5, v5, v22
	v_fmac_f16_e32 v6, v83, v8
	v_mul_f16_e32 v8, v81, v24
	s_wait_loadcnt 0xa
	v_lshrrev_b32_e32 v22, 16, v10
	v_fma_f16 v24, v78, v24, -v25
	v_mul_f16_e32 v25, v80, v10
	v_pack_b32_f16 v6, v6, v23
	;; [unrolled: 7-line block ×5, first 2 shown]
	v_fmac_f16_e32 v11, v74, v12
	v_mul_f16_e32 v12, v73, v22
	s_wait_loadcnt 0x6
	v_lshrrev_b32_e32 v23, 16, v14
	v_fma_f16 v22, v71, v22, -v25
	s_wait_loadcnt 0x5
	v_mul_f16_e32 v25, v69, v18
	v_pack_b32_f16 v11, v11, v24
	v_fmac_f16_e32 v12, v71, v13
	v_lshrrev_b32_e32 v24, 16, v18
	ds_store_b32 v57, v4 offset:2352
	ds_store_b32 v57, v5 offset:4704
	;; [unrolled: 1-line block ×7, first 2 shown]
	v_mul_f16_e32 v26, v72, v14
	v_mul_f16_e32 v13, v72, v23
	v_pack_b32_f16 v4, v12, v22
	v_mul_f16_e32 v5, v69, v24
	s_wait_loadcnt 0x4
	v_lshrrev_b32_e32 v8, 16, v19
	v_mul_f16_e32 v9, v68, v19
	v_fma_f16 v6, v67, v24, -v25
	ds_store_2addr_b32 v57, v7, v4 offset1:224
	v_fmac_f16_e32 v5, v67, v18
	s_wait_loadcnt 0x3
	v_lshrrev_b32_e32 v7, 16, v20
	v_mul_f16_e32 v10, v68, v8
	v_fma_f16 v8, v65, v8, -v9
	v_mul_f16_e32 v9, v66, v20
	v_fma_f16 v23, v70, v23, -v26
	v_fmac_f16_e32 v13, v70, v14
	s_wait_loadcnt 0x2
	v_lshrrev_b32_e32 v11, 16, v21
	v_pack_b32_f16 v5, v5, v6
	v_mul_f16_e32 v6, v66, v7
	v_fma_f16 v7, v64, v7, -v9
	v_mul_f16_e32 v9, v63, v21
	s_wait_loadcnt 0x1
	v_lshrrev_b32_e32 v12, 16, v2
	s_wait_loadcnt 0x0
	v_lshrrev_b32_e32 v14, 16, v3
	v_pack_b32_f16 v4, v13, v23
	v_mul_f16_e32 v13, v63, v11
	v_fmac_f16_e32 v10, v65, v19
	v_fmac_f16_e32 v6, v64, v20
	v_fma_f16 v9, v62, v11, -v9
	v_mul_f16_e32 v11, v61, v2
	v_mul_f16_e32 v18, v61, v12
	;; [unrolled: 1-line block ×4, first 2 shown]
	v_fmac_f16_e32 v13, v62, v21
	v_fma_f16 v11, v60, v12, -v11
	v_fmac_f16_e32 v18, v60, v2
	v_fma_f16 v2, v58, v14, -v19
	v_fmac_f16_e32 v20, v58, v3
	v_pack_b32_f16 v3, v10, v8
	v_pack_b32_f16 v6, v6, v7
	;; [unrolled: 1-line block ×5, first 2 shown]
	ds_store_b32 v57, v4 offset:3248
	ds_store_b32 v57, v5 offset:5600
	ds_store_b32 v57, v3 offset:7952
	ds_store_b32 v57, v6 offset:10304
	ds_store_b32 v57, v7 offset:12656
	ds_store_b32 v57, v8 offset:15008
	ds_store_b32 v57, v2 offset:17360
	s_and_saveexec_b32 s16, vcc_lo
	s_cbranch_execz .LBB0_3
; %bb.2:
	v_add_co_u32 v0, s3, v0, s14
	s_wait_alu 0xf1ff
	v_add_co_ci_u32_e64 v1, s3, s15, v1, s3
	s_delay_alu instid0(VALU_DEP_2) | instskip(SKIP_1) | instid1(VALU_DEP_2)
	v_add_co_u32 v2, s3, v0, s10
	s_wait_alu 0xf1ff
	v_add_co_ci_u32_e64 v3, s3, s11, v1, s3
	global_load_b32 v4, v[0:1], off
	global_load_b32 v5, v[2:3], off
	s_clause 0x6
	global_load_b32 v6, v[15:16], off offset:1792
	global_load_b32 v7, v[15:16], off offset:4144
	;; [unrolled: 1-line block ×7, first 2 shown]
	v_add_co_u32 v0, s3, v2, s10
	s_wait_alu 0xf1ff
	v_add_co_ci_u32_e64 v1, s3, s11, v3, s3
	global_load_b32 v13, v[15:16], off offset:18256
	v_add_co_u32 v2, s3, v0, s10
	s_wait_alu 0xf1ff
	v_add_co_ci_u32_e64 v3, s3, s11, v1, s3
	global_load_b32 v14, v[0:1], off
	v_add_co_u32 v0, s3, v2, s10
	s_wait_alu 0xf1ff
	v_add_co_ci_u32_e64 v1, s3, s11, v3, s3
	global_load_b32 v18, v[2:3], off
	;; [unrolled: 4-line block ×5, first 2 shown]
	global_load_b32 v1, v[2:3], off
	s_wait_loadcnt 0xf
	v_lshrrev_b32_e32 v23, 16, v4
	s_wait_loadcnt 0xe
	v_lshrrev_b32_e32 v28, 16, v5
	s_wait_loadcnt 0xd
	v_lshrrev_b32_e32 v2, 16, v6
	s_wait_loadcnt 0xc
	v_lshrrev_b32_e32 v3, 16, v7
	s_wait_loadcnt 0xb
	v_lshrrev_b32_e32 v21, 16, v8
	s_wait_loadcnt 0xa
	v_lshrrev_b32_e32 v22, 16, v9
	s_wait_loadcnt 0x9
	v_lshrrev_b32_e32 v24, 16, v10
	v_mul_f16_e32 v26, v2, v4
	v_mul_f16_e32 v2, v2, v23
	s_wait_loadcnt 0x8
	v_lshrrev_b32_e32 v25, 16, v11
	s_wait_loadcnt 0x7
	v_lshrrev_b32_e32 v27, 16, v12
	v_fma_f16 v23, v6, v23, -v26
	v_mul_f16_e32 v26, v3, v5
	v_fmac_f16_e32 v2, v6, v4
	v_mul_f16_e32 v3, v3, v28
	s_wait_loadcnt 0x6
	v_lshrrev_b32_e32 v29, 16, v13
	s_wait_loadcnt 0x5
	v_lshrrev_b32_e32 v4, 16, v14
	v_mul_f16_e32 v6, v21, v14
	v_fmac_f16_e32 v3, v7, v5
	v_fma_f16 v26, v7, v28, -v26
	v_pack_b32_f16 v2, v2, v23
	v_mul_f16_e32 v5, v21, v4
	v_fma_f16 v4, v8, v4, -v6
	s_wait_loadcnt 0x4
	v_lshrrev_b32_e32 v6, 16, v18
	v_mul_f16_e32 v7, v22, v18
	v_pack_b32_f16 v3, v3, v26
	v_fmac_f16_e32 v5, v8, v14
	s_wait_loadcnt 0x3
	v_lshrrev_b32_e32 v8, 16, v19
	v_mul_f16_e32 v14, v22, v6
	v_fma_f16 v6, v9, v6, -v7
	v_mul_f16_e32 v7, v24, v19
	v_pack_b32_f16 v4, v5, v4
	v_mul_f16_e32 v5, v24, v8
	v_fmac_f16_e32 v14, v9, v18
	s_wait_loadcnt 0x2
	v_lshrrev_b32_e32 v9, 16, v20
	v_fma_f16 v7, v10, v8, -v7
	v_mul_f16_e32 v8, v25, v20
	v_fmac_f16_e32 v5, v10, v19
	s_wait_loadcnt 0x1
	v_lshrrev_b32_e32 v10, 16, v0
	s_wait_loadcnt 0x0
	v_lshrrev_b32_e32 v19, 16, v1
	v_mul_f16_e32 v18, v25, v9
	v_fma_f16 v8, v11, v9, -v8
	v_mul_f16_e32 v9, v27, v0
	v_mul_f16_e32 v21, v27, v10
	;; [unrolled: 1-line block ×4, first 2 shown]
	v_fmac_f16_e32 v18, v11, v20
	v_fma_f16 v9, v12, v10, -v9
	v_fmac_f16_e32 v21, v12, v0
	v_fma_f16 v0, v13, v19, -v22
	v_fmac_f16_e32 v23, v13, v1
	v_pack_b32_f16 v1, v14, v6
	v_pack_b32_f16 v5, v5, v7
	;; [unrolled: 1-line block ×5, first 2 shown]
	ds_store_b32 v57, v2 offset:1792
	ds_store_b32 v57, v3 offset:4144
	;; [unrolled: 1-line block ×8, first 2 shown]
.LBB0_3:
	s_or_b32 exec_lo, exec_lo, s16
	v_add_nc_u32_e32 v6, 0x1b80, v57
	v_add_nc_u32_e32 v0, 0x900, v57
	;; [unrolled: 1-line block ×7, first 2 shown]
	global_wb scope:SCOPE_SE
	s_wait_dscnt 0x0
	s_wait_kmcnt 0x0
	s_barrier_signal -1
	s_barrier_wait -1
	global_inv scope:SCOPE_SE
	ds_load_2addr_b32 v[4:5], v57 offset1:224
	ds_load_2addr_b32 v[2:3], v0 offset0:12 offset1:236
	ds_load_2addr_b32 v[0:1], v1 offset0:24 offset1:248
	;; [unrolled: 1-line block ×7, first 2 shown]
                                        ; implicit-def: $vgpr22
                                        ; implicit-def: $vgpr26
                                        ; implicit-def: $vgpr14
                                        ; implicit-def: $vgpr27
                                        ; implicit-def: $vgpr20
                                        ; implicit-def: $vgpr23
                                        ; implicit-def: $vgpr21
                                        ; implicit-def: $vgpr25
	s_and_saveexec_b32 s3, vcc_lo
	s_cbranch_execz .LBB0_5
; %bb.4:
	ds_load_b32 v22, v57 offset:1792
	ds_load_b32 v20, v57 offset:4144
	;; [unrolled: 1-line block ×8, first 2 shown]
.LBB0_5:
	s_wait_alu 0xfffe
	s_or_b32 exec_lo, exec_lo, s3
	s_wait_dscnt 0x1
	v_pk_add_f16 v30, v0, v18 neg_lo:[0,1] neg_hi:[0,1]
	s_wait_dscnt 0x0
	v_pk_add_f16 v33, v6, v10 neg_lo:[0,1] neg_hi:[0,1]
	v_pk_add_f16 v32, v4, v12 neg_lo:[0,1] neg_hi:[0,1]
	;; [unrolled: 1-line block ×4, first 2 shown]
	v_lshrrev_b32_e32 v8, 16, v30
	v_lshrrev_b32_e32 v12, 16, v33
	;; [unrolled: 1-line block ×4, first 2 shown]
	v_pk_add_f16 v40, v1, v19 neg_lo:[0,1] neg_hi:[0,1]
	v_sub_f16_e32 v8, v32, v8
	v_sub_f16_e32 v12, v34, v12
	v_add_f16_e32 v29, v10, v30
	v_add_f16_e32 v31, v18, v33
	v_pk_add_f16 v41, v7, v11 neg_lo:[0,1] neg_hi:[0,1]
	v_fma_f16 v35, v32, 2.0, -v8
	v_fma_f16 v36, v34, 2.0, -v12
	;; [unrolled: 1-line block ×4, first 2 shown]
	v_pk_add_f16 v42, v3, v9 neg_lo:[0,1] neg_hi:[0,1]
	v_lshrrev_b32_e32 v9, 16, v40
	v_fmamk_f16 v37, v36, 0xb9a8, v35
	v_lshrrev_b32_e32 v11, 16, v41
	v_fmamk_f16 v39, v18, 0xb9a8, v10
	v_lshrrev_b32_e32 v13, 16, v38
	v_sub_f16_e32 v9, v38, v9
	v_fmac_f16_e32 v37, 0xb9a8, v18
	v_lshrrev_b32_e32 v18, 16, v42
	v_sub_f16_e32 v11, v42, v11
	v_add_f16_e32 v43, v13, v40
	v_fmac_f16_e32 v39, 0x39a8, v36
	v_fmamk_f16 v36, v12, 0x39a8, v8
	v_add_f16_e32 v19, v18, v41
	v_fmamk_f16 v44, v31, 0x39a8, v29
	v_fma_f16 v45, v38, 2.0, -v9
	v_fma_f16 v46, v42, 2.0, -v11
	;; [unrolled: 1-line block ×4, first 2 shown]
	v_fmac_f16_e32 v36, 0xb9a8, v31
	v_fmac_f16_e32 v44, 0x39a8, v12
	v_fmamk_f16 v47, v46, 0xb9a8, v45
	v_pk_add_f16 v12, v14, v27 neg_lo:[0,1] neg_hi:[0,1]
	v_fmamk_f16 v48, v18, 0xb9a8, v13
	v_fma_f16 v50, v8, 2.0, -v36
	v_fmamk_f16 v27, v11, 0x39a8, v9
	v_fmac_f16_e32 v47, 0xb9a8, v18
	v_pk_add_f16 v18, v22, v26 neg_lo:[0,1] neg_hi:[0,1]
	v_fmac_f16_e32 v48, 0x39a8, v46
	v_fmamk_f16 v46, v19, 0x39a8, v43
	v_lshrrev_b32_e32 v8, 16, v12
	v_fmac_f16_e32 v27, 0xb9a8, v19
	v_pk_add_f16 v23, v20, v23 neg_lo:[0,1] neg_hi:[0,1]
	v_fma_f16 v26, v13, 2.0, -v48
	v_fmac_f16_e32 v46, 0x39a8, v11
	v_lshrrev_b32_e32 v11, 16, v18
	v_sub_f16_e32 v8, v18, v8
	v_pk_add_f16 v13, v21, v25 neg_lo:[0,1] neg_hi:[0,1]
	v_pk_fma_f16 v4, v4, 2.0, v32 op_sel_hi:[1,0,1] neg_lo:[0,0,1] neg_hi:[0,0,1]
	v_pk_fma_f16 v2, v2, 2.0, v34 op_sel_hi:[1,0,1] neg_lo:[0,0,1] neg_hi:[0,0,1]
	v_pk_fma_f16 v6, v6, 2.0, v33 op_sel_hi:[1,0,1] neg_lo:[0,0,1] neg_hi:[0,0,1]
	v_pk_fma_f16 v0, v0, 2.0, v30 op_sel_hi:[1,0,1] neg_lo:[0,0,1] neg_hi:[0,0,1]
	v_fma_f16 v49, v10, 2.0, -v39
	v_fma_f16 v51, v29, 2.0, -v44
	;; [unrolled: 1-line block ×3, first 2 shown]
	v_add_f16_e32 v9, v12, v11
	v_fma_f16 v10, v18, 2.0, -v8
	v_pk_fma_f16 v22, v22, 2.0, v18 op_sel_hi:[1,0,1] neg_lo:[0,0,1] neg_hi:[0,0,1]
	v_lshrrev_b32_e32 v18, 16, v13
	v_lshrrev_b32_e32 v25, 16, v23
	v_pk_fma_f16 v12, v14, 2.0, v12 op_sel_hi:[1,0,1] neg_lo:[0,0,1] neg_hi:[0,0,1]
	v_pk_fma_f16 v29, v20, 2.0, v23 op_sel_hi:[1,0,1] neg_lo:[0,0,1] neg_hi:[0,0,1]
	;; [unrolled: 1-line block ×3, first 2 shown]
	v_pk_add_f16 v6, v2, v6 neg_lo:[0,1] neg_hi:[0,1]
	v_pk_add_f16 v30, v4, v0 neg_lo:[0,1] neg_hi:[0,1]
	v_sub_f16_e32 v18, v23, v18
	v_add_f16_e32 v19, v13, v25
	v_pk_add_f16 v13, v22, v12 neg_lo:[0,1] neg_hi:[0,1]
	v_pk_add_f16 v53, v29, v20 neg_lo:[0,1] neg_hi:[0,1]
	v_lshrrev_b32_e32 v0, 16, v6
	v_lshrrev_b32_e32 v34, 16, v30
	v_fma_f16 v20, v23, 2.0, -v18
	v_fma_f16 v21, v25, 2.0, -v19
	v_fma_f16 v25, v43, 2.0, -v46
	v_pk_fma_f16 v12, v22, 2.0, v13 op_sel_hi:[1,0,1] neg_lo:[0,0,1] neg_hi:[0,0,1]
	v_pk_fma_f16 v23, v29, 2.0, v53 op_sel_hi:[1,0,1] neg_lo:[0,0,1] neg_hi:[0,0,1]
	v_pk_add_f16 v29, v13, v53 op_sel:[0,1] op_sel_hi:[1,0] neg_lo:[0,1] neg_hi:[0,1]
	v_pk_add_f16 v22, v13, v53 op_sel:[0,1] op_sel_hi:[1,0]
	v_pk_fma_f16 v4, v4, 2.0, v30 op_sel_hi:[1,0,1] neg_lo:[0,0,1] neg_hi:[0,0,1]
	v_pk_fma_f16 v2, v2, 2.0, v6 op_sel_hi:[1,0,1] neg_lo:[0,0,1] neg_hi:[0,0,1]
	v_sub_f16_e32 v43, v30, v0
	v_add_f16_e32 v53, v34, v6
	v_pk_fma_f16 v38, v5, 2.0, v38 op_sel_hi:[1,0,1] neg_lo:[0,0,1] neg_hi:[0,0,1]
	v_pk_fma_f16 v3, v3, 2.0, v42 op_sel_hi:[1,0,1] neg_lo:[0,0,1] neg_hi:[0,0,1]
	;; [unrolled: 1-line block ×4, first 2 shown]
	v_pk_add_f16 v0, v4, v2 neg_lo:[0,1] neg_hi:[0,1]
	v_fma_f16 v2, v30, 2.0, -v43
	v_fma_f16 v6, v34, 2.0, -v53
	v_pk_add_f16 v30, v3, v5 neg_lo:[0,1] neg_hi:[0,1]
	v_pk_add_f16 v1, v38, v1 neg_lo:[0,1] neg_hi:[0,1]
	v_fma_f16 v35, v35, 2.0, -v37
	v_add_co_u32 v28, null, 0xe0, v82
	v_pack_b32_f16 v6, v2, v6
	v_lshrrev_b32_e32 v2, 16, v30
	v_lshrrev_b32_e32 v34, 16, v1
	v_pack_b32_f16 v5, v35, v49
	v_pk_fma_f16 v35, v38, 2.0, v1 op_sel_hi:[1,0,1] neg_lo:[0,0,1] neg_hi:[0,0,1]
	v_pk_fma_f16 v38, v3, 2.0, v30 op_sel_hi:[1,0,1] neg_lo:[0,0,1] neg_hi:[0,0,1]
	v_sub_f16_e32 v49, v1, v2
	v_add_f16_e32 v30, v34, v30
	v_fma_f16 v14, v11, 2.0, -v9
	v_pack_b32_f16 v3, v36, v44
	v_pk_add_f16 v36, v35, v38 neg_lo:[0,1] neg_hi:[0,1]
	v_fma_f16 v45, v45, 2.0, -v47
	v_fma_f16 v38, v1, 2.0, -v49
	;; [unrolled: 1-line block ×3, first 2 shown]
	v_add_co_u32 v24, null, 0x1c0, v82
	v_fmamk_f16 v11, v20, 0xb9a8, v10
	v_fmamk_f16 v31, v21, 0xb9a8, v14
	;; [unrolled: 1-line block ×4, first 2 shown]
	v_lshlrev_b32_e32 v92, 5, v82
	v_pk_fma_f16 v4, v4, 2.0, v0 op_sel_hi:[1,0,1] neg_lo:[0,0,1] neg_hi:[0,0,1]
	v_pack_b32_f16 v7, v50, v51
	v_lshlrev_b32_e32 v93, 5, v28
	v_pk_fma_f16 v40, v35, 2.0, v36 op_sel_hi:[1,0,1] neg_lo:[0,0,1] neg_hi:[0,0,1]
	v_lshrrev_b32_e32 v35, 16, v22
	v_pack_b32_f16 v2, v43, v53
	v_pack_b32_f16 v1, v37, v39
	;; [unrolled: 1-line block ×8, first 2 shown]
	global_wb scope:SCOPE_SE
	s_barrier_signal -1
	s_barrier_wait -1
	global_inv scope:SCOPE_SE
	ds_store_b128 v92, v[4:7]
	ds_store_b128 v92, v[0:3] offset:16
	ds_store_b128 v93, v[40:43]
	ds_store_b128 v93, v[36:39] offset:16
	s_and_saveexec_b32 s3, s2
	s_wait_alu 0xfffe
	s_xor_b32 s2, exec_lo, s3
; %bb.6:
                                        ; implicit-def: $vgpr8
                                        ; implicit-def: $vgpr9
                                        ; implicit-def: $vgpr10
                                        ; implicit-def: $vgpr14
                                        ; implicit-def: $vgpr13
                                        ; implicit-def: $vgpr22
; %bb.7:
	s_wait_alu 0xfffe
	s_or_saveexec_b32 s2, s2
	v_pk_add_f16 v0, v12, v23 neg_lo:[0,1] neg_hi:[0,1]
	v_fmac_f16_e32 v11, 0xb9a8, v21
	v_fmac_f16_e32 v31, 0x39a8, v20
	;; [unrolled: 1-line block ×4, first 2 shown]
	s_wait_alu 0xfffe
	s_xor_b32 exec_lo, exec_lo, s2
	s_cbranch_execz .LBB0_9
; %bb.8:
	v_bfi_b32 v2, 0xffff, v29, v22
	v_fma_f16 v1, v8, 2.0, -v32
	v_fma_f16 v3, v9, 2.0, -v33
	;; [unrolled: 1-line block ×4, first 2 shown]
	v_lshlrev_b32_e32 v9, 5, v24
	v_pk_fma_f16 v4, v12, 2.0, v0 op_sel_hi:[1,0,1] neg_lo:[0,0,1] neg_hi:[0,0,1]
	v_pk_fma_f16 v6, v13, 2.0, v2 op_sel_hi:[1,0,1] neg_lo:[0,0,1] neg_hi:[0,0,1]
	v_pack_b32_f16 v7, v1, v3
	v_pack_b32_f16 v5, v5, v8
	v_perm_b32 v3, v33, v32, 0x5040100
	v_perm_b32 v1, v31, v11, 0x5040100
	ds_store_b128 v9, v[4:7]
	ds_store_b128 v9, v[0:3] offset:16
.LBB0_9:
	s_or_b32 exec_lo, exec_lo, s2
	v_add_nc_u32_e32 v3, 0x1200, v57
	v_add_nc_u32_e32 v4, 0x2480, v57
	global_wb scope:SCOPE_SE
	s_wait_dscnt 0x0
	s_barrier_signal -1
	s_barrier_wait -1
	global_inv scope:SCOPE_SE
	ds_load_2addr_b32 v[1:2], v57 offset1:224
	ds_load_2addr_b32 v[9:10], v3 offset0:24 offset1:248
	ds_load_2addr_b32 v[5:6], v4 offset0:16 offset1:240
	v_add_nc_u32_e32 v3, 0x3700, v57
	v_add_nc_u32_e32 v4, 0x700, v57
	;; [unrolled: 1-line block ×5, first 2 shown]
	ds_load_2addr_b32 v[22:23], v3 offset0:8 offset1:232
	ds_load_2addr_b32 v[3:4], v4 offset1:224
	ds_load_2addr_b32 v[20:21], v7 offset0:24 offset1:248
	ds_load_2addr_b32 v[18:19], v8 offset0:16 offset1:240
	;; [unrolled: 1-line block ×3, first 2 shown]
	ds_load_b32 v36, v57 offset:3584
	ds_load_b32 v39, v57 offset:8288
	;; [unrolled: 1-line block ×4, first 2 shown]
	s_load_b64 s[2:3], s[0:1], 0x8
	v_lshlrev_b32_e32 v26, 3, v82
	v_lshlrev_b32_e32 v25, 3, v28
	v_cmp_gt_u16_e64 s0, 56, v82
	s_delay_alu instid0(VALU_DEP_1)
	s_and_saveexec_b32 s1, s0
	s_cbranch_execz .LBB0_11
; %bb.10:
	ds_load_b32 v11, v57 offset:9184
	ds_load_b32 v29, v57 offset:13888
	;; [unrolled: 1-line block ×4, first 2 shown]
	s_wait_dscnt 0x3
	v_lshrrev_b32_e32 v31, 16, v11
	s_wait_dscnt 0x2
	v_lshrrev_b32_e32 v35, 16, v29
	;; [unrolled: 2-line block ×3, first 2 shown]
.LBB0_11:
	s_wait_alu 0xfffe
	s_or_b32 exec_lo, exec_lo, s1
	v_and_b32_e32 v91, 7, v82
	v_add_co_u32 v30, null, 0x2a0, v82
	v_lshlrev_b32_e32 v95, 2, v24
	v_lshlrev_b32_e32 v94, 2, v28
	s_wait_kmcnt 0x0
	v_mad_co_u64_u32 v[12:13], null, v91, 12, s[2:3]
	v_lshlrev_b32_e32 v99, 2, v30
	v_and_or_b32 v95, 0xfe0, v95, v91
	v_and_or_b32 v96, 0x3e0, v57, v91
	;; [unrolled: 1-line block ×3, first 2 shown]
	s_wait_dscnt 0xa
	v_lshrrev_b32_e32 v41, 16, v9
	s_wait_dscnt 0x9
	v_lshrrev_b32_e32 v42, 16, v5
	global_load_b96 v[12:14], v[12:13], off
	v_lshlrev_b32_e32 v98, 2, v95
	v_and_or_b32 v95, 0xfe0, v99, v91
	s_wait_dscnt 0x8
	v_lshrrev_b32_e32 v43, 16, v22
	v_lshlrev_b32_e32 v102, 2, v96
	v_lshlrev_b32_e32 v101, 2, v97
	v_lshrrev_b32_e32 v45, 16, v10
	v_lshlrev_b32_e32 v99, 2, v95
	v_lshrrev_b32_e32 v46, 16, v6
	v_lshrrev_b32_e32 v47, 16, v23
	s_wait_dscnt 0x6
	v_lshrrev_b32_e32 v49, 16, v20
	s_wait_dscnt 0x5
	;; [unrolled: 2-line block ×3, first 2 shown]
	v_lshrrev_b32_e32 v51, 16, v7
	v_lshrrev_b32_e32 v53, 16, v21
	v_lshrrev_b32_e32 v54, 16, v19
	v_lshrrev_b32_e32 v55, 16, v8
	s_wait_dscnt 0x2
	v_lshrrev_b32_e32 v103, 16, v39
	s_wait_dscnt 0x1
	v_lshrrev_b32_e32 v104, 16, v38
	;; [unrolled: 2-line block ×3, first 2 shown]
	v_lshrrev_b32_e32 v40, 16, v1
	v_lshrrev_b32_e32 v44, 16, v2
	;; [unrolled: 1-line block ×6, first 2 shown]
	v_add_co_u32 v27, null, 0x380, v82
	v_add_co_u32 v34, null, 0x460, v82
	global_wb scope:SCOPE_SE
	s_wait_loadcnt 0x0
	v_lshlrev_b32_e32 v100, 2, v27
	s_barrier_signal -1
	v_lshlrev_b32_e32 v94, 2, v34
	s_barrier_wait -1
	global_inv scope:SCOPE_SE
	v_and_or_b32 v100, 0x1fe0, v100, v91
	s_delay_alu instid0(VALU_DEP_1) | instskip(SKIP_3) | instid1(VALU_DEP_3)
	v_lshlrev_b32_e32 v100, 2, v100
	v_lshrrev_b32_e32 v96, 16, v12
	v_lshrrev_b32_e32 v97, 16, v13
	;; [unrolled: 1-line block ×3, first 2 shown]
	v_mul_f16_e32 v107, v41, v96
	v_mul_f16_e32 v108, v9, v96
	s_delay_alu instid0(VALU_DEP_4)
	v_mul_f16_e32 v109, v42, v97
	v_mul_f16_e32 v110, v5, v97
	;; [unrolled: 1-line block ×19, first 2 shown]
	v_mul_f16_e64 v128, v19, v97
	v_mul_f16_e64 v129, v55, v95
	;; [unrolled: 1-line block ×15, first 2 shown]
	v_fma_f16 v9, v9, v12, -v107
	v_fmac_f16_e32 v108, v41, v12
	v_fma_f16 v5, v5, v13, -v109
	v_fmac_f16_e32 v110, v42, v13
	;; [unrolled: 2-line block ×10, first 2 shown]
	v_fma_f16 v19, v19, v13, -v127
	v_fmac_f16_e64 v128, v54, v13
	v_fma_f16 v8, v8, v14, -v129
	v_fmac_f16_e64 v130, v55, v14
	;; [unrolled: 2-line block ×8, first 2 shown]
	v_sub_f16_e32 v5, v1, v5
	v_sub_f16_e32 v32, v40, v110
	;; [unrolled: 1-line block ×13, first 2 shown]
	v_sub_f16_e64 v45, v52, v128
	v_sub_f16_e32 v8, v21, v8
	v_sub_f16_e64 v46, v126, v130
	v_sub_f16_e32 v38, v36, v38
	;; [unrolled: 2-line block ×5, first 2 shown]
	v_sub_f16_e64 v51, v138, v142
	v_fma_f16 v53, v1, 2.0, -v5
	v_fma_f16 v40, v40, 2.0, -v32
	v_fma_f16 v9, v9, 2.0, -v22
	v_fma_f16 v54, v108, 2.0, -v33
	v_fma_f16 v2, v2, 2.0, -v6
	v_fma_f16 v44, v44, 2.0, -v35
	v_fma_f16 v10, v10, 2.0, -v23
	v_fma_f16 v55, v114, 2.0, -v41
	v_fma_f16 v3, v3, 2.0, -v18
	v_fma_f16 v48, v48, 2.0, -v42
	v_fma_f16 v20, v20, 2.0, -v7
	v_fma_f16 v103, v120, 2.0, -v43
	v_sub_f16_e32 v33, v5, v33
	v_add_f16_e32 v22, v32, v22
	v_fma_f16 v4, v4, 2.0, -v19
	v_fma_f16 v52, v52, 2.0, -v45
	;; [unrolled: 1-line block ×10, first 2 shown]
	v_sub_f16_e32 v125, v29, v51
	v_add_f16_e32 v126, v50, v31
	v_sub_f16_e32 v9, v53, v9
	v_sub_f16_e32 v31, v40, v54
	;; [unrolled: 1-line block ×3, first 2 shown]
	v_add_f16_e32 v23, v35, v23
	v_sub_f16_e32 v49, v38, v49
	v_add_f16_e32 v37, v47, v37
	v_fma_f16 v0, v106, 2.0, -v50
	v_fma_f16 v106, v138, 2.0, -v51
	v_sub_f16_e32 v10, v2, v10
	v_sub_f16_e32 v51, v44, v55
	;; [unrolled: 1-line block ×3, first 2 shown]
	v_add_f16_e32 v7, v42, v7
	v_sub_f16_e32 v20, v3, v20
	v_sub_f16_e32 v54, v48, v103
	;; [unrolled: 1-line block ×3, first 2 shown]
	v_add_f16_e32 v8, v45, v8
	v_fma_f16 v5, v5, 2.0, -v33
	v_fma_f16 v32, v32, 2.0, -v22
	v_sub_f16_e32 v21, v4, v21
	v_sub_f16_e32 v55, v52, v104
	;; [unrolled: 1-line block ×4, first 2 shown]
	v_sub_f16_e64 v128, v1, v11
	v_fma_f16 v127, v29, 2.0, -v125
	v_pack_b32_f16 v11, v33, v22
	v_fma_f16 v29, v53, 2.0, -v9
	v_fma_f16 v33, v40, 2.0, -v31
	;; [unrolled: 1-line block ×5, first 2 shown]
	v_pack_b32_f16 v22, v41, v23
	v_pack_b32_f16 v23, v49, v37
	v_fma_f16 v2, v2, 2.0, -v10
	v_fma_f16 v37, v44, 2.0, -v51
	;; [unrolled: 1-line block ×9, first 2 shown]
	v_sub_f16_e64 v130, v0, v106
	v_fma_f16 v129, v50, 2.0, -v126
	v_pack_b32_f16 v7, v43, v7
	v_fma_f16 v4, v4, 2.0, -v21
	v_fma_f16 v41, v52, 2.0, -v55
	;; [unrolled: 1-line block ×4, first 2 shown]
	v_pack_b32_f16 v5, v5, v32
	v_pack_b32_f16 v9, v9, v31
	v_pack_b32_f16 v29, v29, v33
	v_pack_b32_f16 v6, v6, v35
	v_pack_b32_f16 v2, v2, v37
	v_pack_b32_f16 v10, v10, v51
	v_pack_b32_f16 v18, v18, v42
	v_pack_b32_f16 v3, v3, v40
	v_pack_b32_f16 v20, v20, v54
	v_pack_b32_f16 v8, v46, v8
	v_pack_b32_f16 v19, v19, v45
	v_pack_b32_f16 v21, v21, v55
	v_pack_b32_f16 v31, v38, v47
	v_pack_b32_f16 v32, v39, v103
	ds_store_2addr_b32 v102, v9, v11 offset0:16 offset1:24
	v_pack_b32_f16 v4, v4, v41
	v_pack_b32_f16 v9, v36, v43
	ds_store_2addr_b32 v102, v29, v5 offset1:8
	ds_store_2addr_b32 v101, v2, v6 offset1:8
	ds_store_2addr_b32 v101, v10, v22 offset0:16 offset1:24
	ds_store_2addr_b32 v98, v3, v18 offset1:8
	ds_store_2addr_b32 v98, v20, v7 offset0:16 offset1:24
	;; [unrolled: 2-line block ×4, first 2 shown]
	s_and_saveexec_b32 s1, s0
	s_cbranch_execz .LBB0_13
; %bb.12:
	v_fma_f16 v1, v1, 2.0, -v128
	v_and_or_b32 v2, 0x13e0, v94, v91
	v_fma_f16 v0, v0, 2.0, -v130
	v_perm_b32 v3, v129, v127, 0x5040100
	v_perm_b32 v4, v126, v125, 0x5040100
	s_delay_alu instid0(VALU_DEP_4) | instskip(NEXT) | instid1(VALU_DEP_4)
	v_lshlrev_b32_e32 v2, 2, v2
	v_pack_b32_f16 v0, v1, v0
	v_perm_b32 v1, v130, v128, 0x5040100
	ds_store_2addr_b32 v2, v0, v3 offset1:8
	ds_store_2addr_b32 v2, v1, v4 offset0:16 offset1:24
.LBB0_13:
	s_wait_alu 0xfffe
	s_or_b32 exec_lo, exec_lo, s1
	v_and_b32_e32 v6, 31, v82
	global_wb scope:SCOPE_SE
	s_wait_dscnt 0x0
	s_barrier_signal -1
	s_barrier_wait -1
	global_inv scope:SCOPE_SE
	v_mad_co_u64_u32 v[4:5], null, v6, 24, s[2:3]
	v_add_nc_u32_e32 v43, 0x700, v57
	v_add_nc_u32_e32 v38, 0x1500, v57
	;; [unrolled: 1-line block ×6, first 2 shown]
	s_clause 0x1
	global_load_b128 v[0:3], v[4:5], off offset:96
	global_load_b64 v[18:19], v[4:5], off offset:112
	ds_load_2addr_b32 v[4:5], v57 offset1:224
	v_add_nc_u32_e32 v44, 0x3f00, v57
	v_add_nc_u32_e32 v45, 0xe00, v57
	v_add_nc_u32_e32 v48, 0x3800, v57
	ds_load_b32 v11, v57 offset:17920
	v_lshrrev_b32_e32 v37, 5, v28
	ds_load_2addr_b32 v[7:8], v43 offset1:224
	ds_load_2addr_b32 v[9:10], v38 offset1:224
	;; [unrolled: 1-line block ×9, first 2 shown]
	v_lshrrev_b32_e32 v33, 5, v82
	global_wb scope:SCOPE_SE
	s_wait_loadcnt_dscnt 0x0
	v_mul_u32_u24_e32 v37, 0xe0, v37
	s_barrier_signal -1
	s_barrier_wait -1
	v_mul_u32_u24_e32 v33, 0xe0, v33
	global_inv scope:SCOPE_SE
	v_or_b32_e32 v37, v37, v6
	v_or_b32_e32 v33, v33, v6
	v_lshrrev_b32_e32 v53, 16, v8
	v_lshrrev_b32_e32 v54, 16, v9
	;; [unrolled: 1-line block ×18, first 2 shown]
	v_lshlrev_b32_e32 v103, 2, v33
	v_lshrrev_b32_e32 v33, 16, v4
	v_lshrrev_b32_e32 v51, 16, v5
	;; [unrolled: 1-line block ×9, first 2 shown]
	v_mul_f16_e32 v124, v53, v110
	v_mul_f16_e64 v131, v8, v110
	v_mul_f16_e64 v132, v54, v109
	;; [unrolled: 1-line block ×33, first 2 shown]
	v_fma_f16 v8, v8, v0, -v124
	v_fmac_f16_e64 v131, v53, v0
	v_fma_f16 v9, v9, v1, -v132
	v_fmac_f16_e64 v133, v54, v1
	;; [unrolled: 2-line block ×4, first 2 shown]
	v_mul_f16_e64 v159, v41, v108
	v_mul_f16_e64 v161, v28, v107
	v_fma_f16 v21, v21, v2, -v134
	v_fmac_f16_e64 v135, v55, v2
	v_fma_f16 v22, v22, v3, -v136
	v_fmac_f16_e64 v137, v56, v3
	;; [unrolled: 2-line block ×10, first 2 shown]
	v_fma_f16 v41, v41, v2, -v158
	v_fma_f16 v28, v28, v3, -v160
	v_fma_f16 v50, v50, v18, -v162
	v_fmac_f16_e64 v163, v123, v18
	v_fma_f16 v11, v11, v19, -v164
	v_fmac_f16_e64 v165, v52, v19
	v_add_f16_e32 v52, v8, v31
	v_add_f16_e64 v53, v131, v141
	v_add_f16_e32 v54, v9, v29
	v_add_f16_e64 v55, v133, v139
	v_fmac_f16_e64 v159, v121, v2
	v_fmac_f16_e64 v161, v122, v3
	v_sub_f16_e32 v8, v8, v31
	v_sub_f16_e64 v31, v131, v141
	v_sub_f16_e32 v9, v9, v29
	v_sub_f16_e64 v29, v133, v139
	v_add_f16_e32 v56, v21, v22
	v_add_f16_e64 v106, v135, v137
	v_sub_f16_e32 v21, v22, v21
	v_sub_f16_e64 v22, v137, v135
	v_add_f16_e32 v111, v35, v32
	v_add_f16_e64 v112, v143, v153
	;; [unrolled: 4-line block ×3, first 2 shown]
	v_sub_f16_e32 v10, v10, v49
	v_sub_f16_e64 v49, v145, v151
	v_add_f16_e32 v115, v40, v23
	v_sub_f16_e32 v23, v23, v40
	v_sub_f16_e64 v40, v149, v147
	v_add_f16_e32 v117, v36, v11
	v_add_f16_e64 v119, v155, v165
	v_sub_f16_e32 v11, v36, v11
	v_add_f16_e32 v120, v20, v50
	v_add_f16_e64 v121, v157, v163
	v_sub_f16_e32 v20, v20, v50
	v_add_f16_e32 v122, v41, v28
	v_sub_f16_e32 v28, v28, v41
	v_add_f16_e32 v124, v54, v52
	v_add_f16_e64 v131, v55, v53
	v_add_f16_e64 v116, v147, v149
	v_sub_f16_e64 v36, v155, v165
	v_sub_f16_e64 v50, v157, v163
	;; [unrolled: 1-line block ×3, first 2 shown]
	v_add_f16_e64 v123, v159, v161
	v_sub_f16_e64 v132, v54, v52
	v_sub_f16_e64 v133, v55, v53
	v_sub_f16_e32 v52, v52, v56
	v_sub_f16_e32 v53, v53, v106
	;; [unrolled: 1-line block ×4, first 2 shown]
	v_add_f16_e64 v134, v21, v9
	v_add_f16_e64 v135, v22, v29
	v_sub_f16_e64 v136, v21, v9
	v_sub_f16_e64 v137, v22, v29
	v_sub_f16_e32 v9, v9, v8
	v_sub_f16_e32 v29, v29, v31
	v_add_f16_e64 v138, v113, v111
	v_add_f16_e64 v139, v114, v112
	v_sub_f16_e64 v140, v113, v111
	v_sub_f16_e32 v111, v111, v115
	v_sub_f16_e32 v113, v115, v113
	v_add_f16_e64 v142, v23, v10
	v_add_f16_e64 v143, v40, v49
	v_sub_f16_e64 v144, v23, v10
	v_sub_f16_e64 v145, v40, v49
	v_sub_f16_e32 v10, v10, v32
	v_sub_f16_e32 v49, v49, v35
	v_add_f16_e64 v146, v120, v117
	v_add_f16_e64 v147, v121, v119
	;; [unrolled: 1-line block ×3, first 2 shown]
	v_sub_f16_e64 v152, v28, v20
	v_sub_f16_e32 v20, v20, v11
	v_add_f16_e32 v56, v56, v124
	v_add_f16_e64 v106, v106, v131
	v_sub_f16_e64 v141, v114, v112
	v_sub_f16_e32 v112, v112, v116
	v_sub_f16_e32 v114, v116, v114
	v_add_f16_e64 v151, v41, v50
	v_sub_f16_e64 v153, v41, v50
	v_sub_f16_e32 v50, v50, v36
	v_sub_f16_e32 v21, v8, v21
	;; [unrolled: 1-line block ×5, first 2 shown]
	v_sub_f16_e64 v148, v120, v117
	v_sub_f16_e64 v149, v121, v119
	v_sub_f16_e32 v117, v117, v122
	v_sub_f16_e32 v119, v119, v123
	;; [unrolled: 1-line block ×5, first 2 shown]
	v_add_f16_e64 v8, v134, v8
	v_add_f16_e64 v31, v135, v31
	v_mul_f16_e32 v52, 0x3a52, v52
	v_mul_f16_e32 v53, 0x3a52, v53
	;; [unrolled: 1-line block ×3, first 2 shown]
	v_mul_f16_e64 v131, 0x2b26, v55
	v_mul_f16_e64 v134, 0xb846, v136
	;; [unrolled: 1-line block ×5, first 2 shown]
	v_add_f16_e64 v115, v115, v138
	v_add_f16_e64 v116, v116, v139
	;; [unrolled: 1-line block ×4, first 2 shown]
	v_mul_f16_e32 v111, 0x3a52, v111
	v_mul_f16_e64 v138, 0x2b26, v113
	v_mul_f16_e64 v142, 0xb846, v144
	;; [unrolled: 1-line block ×5, first 2 shown]
	v_add_f16_e64 v122, v122, v146
	v_add_f16_e64 v123, v123, v147
	v_add_f16_e64 v11, v150, v11
	v_mul_f16_e64 v150, 0xb846, v152
	v_mul_f16_e64 v152, 0x3b00, v20
	v_add_f16_e32 v4, v4, v56
	v_add_f16_e32 v33, v33, v106
	v_sub_f16_e32 v41, v36, v41
	v_mul_f16_e32 v112, 0x3a52, v112
	v_mul_f16_e64 v139, 0x2b26, v114
	v_add_f16_e64 v36, v151, v36
	v_mul_f16_e64 v151, 0xb846, v153
	v_mul_f16_e64 v153, 0x3b00, v50
	v_mul_f16_e32 v117, 0x3a52, v117
	v_mul_f16_e32 v119, 0x3a52, v119
	v_mul_f16_e64 v146, 0x2b26, v120
	v_mul_f16_e64 v147, 0x2b26, v121
	v_fmamk_f16 v54, v54, 0x2b26, v52
	v_fmamk_f16 v55, v55, 0x2b26, v53
	v_fma_f16 v124, v132, 0x39e0, -v124
	v_fma_f16 v131, v133, 0x39e0, -v131
	v_fma_f16 v52, v132, 0xb9e0, -v52
	v_fma_f16 v53, v133, 0xb9e0, -v53
	v_fma_f16 v132, 0x3574, v21, v134
	v_fma_f16 v133, 0x3574, v22, v135
	v_fma_f16 v9, v9, 0x3b00, -v134
	v_fma_f16 v29, v29, 0x3b00, -v135
	;; [unrolled: 1-line block ×4, first 2 shown]
	v_add_f16_e32 v5, v5, v115
	v_add_f16_e32 v51, v51, v116
	v_fmamk_f16 v113, v113, 0x2b26, v111
	v_fma_f16 v134, v140, 0x39e0, -v138
	v_fma_f16 v111, v140, 0xb9e0, -v111
	v_fma_f16 v136, 0x3574, v23, v142
	v_fma_f16 v137, 0x3574, v40, v143
	v_fma_f16 v10, v10, 0x3b00, -v142
	v_fma_f16 v49, v49, 0x3b00, -v143
	;; [unrolled: 1-line block ×4, first 2 shown]
	v_add_f16_e32 v7, v7, v122
	v_add_f16_e32 v118, v118, v123
	v_fma_f16 v140, 0x3574, v28, v150
	v_fma_f16 v20, v20, 0x3b00, -v150
	v_fma_f16 v28, v28, 0xb574, -v152
	v_fmamk_f16 v56, v56, 0xbcab, v4
	v_fmamk_f16 v106, v106, 0xbcab, v33
	;; [unrolled: 1-line block ×3, first 2 shown]
	v_fma_f16 v135, v141, 0x39e0, -v139
	v_fma_f16 v112, v141, 0xb9e0, -v112
	v_fma_f16 v141, 0x3574, v41, v151
	v_fma_f16 v50, v50, 0x3b00, -v151
	v_fma_f16 v41, v41, 0xb574, -v153
	v_fmamk_f16 v120, v120, 0x2b26, v117
	v_fmamk_f16 v121, v121, 0x2b26, v119
	v_fma_f16 v138, v148, 0x39e0, -v146
	v_fma_f16 v139, v149, 0x39e0, -v147
	;; [unrolled: 1-line block ×4, first 2 shown]
	v_fmac_f16_e64 v132, 0x370e, v8
	v_fmac_f16_e64 v133, 0x370e, v31
	v_fmac_f16_e32 v9, 0x370e, v8
	v_fmac_f16_e32 v29, 0x370e, v31
	;; [unrolled: 1-line block ×4, first 2 shown]
	v_fmamk_f16 v8, v115, 0xbcab, v5
	v_fmamk_f16 v31, v116, 0xbcab, v51
	v_fmac_f16_e64 v136, 0x370e, v32
	v_fmac_f16_e64 v137, 0x370e, v35
	v_fmac_f16_e32 v10, 0x370e, v32
	v_fmac_f16_e32 v49, 0x370e, v35
	;; [unrolled: 1-line block ×4, first 2 shown]
	v_fmamk_f16 v32, v122, 0xbcab, v7
	v_fmamk_f16 v35, v123, 0xbcab, v118
	v_fmac_f16_e64 v140, 0x370e, v11
	v_fmac_f16_e32 v20, 0x370e, v11
	v_fmac_f16_e32 v28, 0x370e, v11
	v_pack_b32_f16 v4, v4, v33
	v_add_f16_e32 v11, v54, v56
	v_add_f16_e32 v33, v55, v106
	v_fmac_f16_e64 v141, 0x370e, v36
	v_fmac_f16_e32 v50, 0x370e, v36
	v_fmac_f16_e32 v41, 0x370e, v36
	v_add_f16_e32 v36, v124, v56
	v_add_f16_e64 v54, v131, v106
	v_add_f16_e32 v52, v52, v56
	v_add_f16_e32 v53, v53, v106
	;; [unrolled: 1-line block ×4, first 2 shown]
	v_add_f16_e64 v106, v134, v8
	v_add_f16_e64 v113, v135, v31
	v_add_f16_e32 v8, v111, v8
	v_add_f16_e32 v31, v112, v31
	;; [unrolled: 1-line block ×4, first 2 shown]
	v_add_f16_e64 v114, v138, v32
	v_add_f16_e64 v115, v139, v35
	v_add_f16_e32 v32, v117, v32
	v_add_f16_e32 v35, v119, v35
	v_add_f16_e64 v116, v133, v11
	v_sub_f16_e64 v117, v33, v132
	v_add_f16_e32 v119, v22, v52
	v_sub_f16_e32 v120, v53, v21
	v_sub_f16_e32 v121, v36, v29
	v_add_f16_e32 v122, v9, v54
	v_add_f16_e32 v29, v29, v36
	v_sub_f16_e32 v9, v54, v9
	v_sub_f16_e32 v22, v52, v22
	v_add_f16_e32 v21, v21, v53
	v_sub_f16_e64 v11, v11, v133
	v_add_f16_e64 v33, v132, v33
	v_sub_f16_e64 v131, v35, v28
	v_add_f16_e32 v35, v28, v35
	v_pack_b32_f16 v28, v116, v117
	v_add_f16_e64 v36, v137, v55
	v_sub_f16_e32 v54, v31, v23
	v_sub_f16_e32 v123, v106, v49
	v_add_f16_e32 v124, v10, v113
	v_add_f16_e32 v49, v49, v106
	v_sub_f16_e32 v10, v113, v10
	v_add_f16_e32 v23, v23, v31
	v_sub_f16_e64 v31, v55, v137
	v_add_f16_e64 v55, v141, v111
	v_add_f16_e32 v113, v41, v32
	v_sub_f16_e32 v32, v32, v41
	v_sub_f16_e64 v41, v111, v141
	v_pack_b32_f16 v106, v119, v120
	v_pack_b32_f16 v111, v121, v122
	;; [unrolled: 1-line block ×4, first 2 shown]
	v_sub_f16_e64 v52, v56, v136
	v_pack_b32_f16 v11, v11, v33
	ds_store_2addr_b32 v103, v4, v28 offset1:32
	ds_store_2addr_b32 v103, v106, v111 offset0:64 offset1:96
	ds_store_2addr_b32 v103, v9, v21 offset0:128 offset1:160
	v_pack_b32_f16 v4, v5, v51
	v_lshrrev_b32_e32 v5, 5, v24
	v_lshrrev_b16 v21, 5, v24
	v_add_f16_e32 v53, v40, v8
	v_lshlrev_b32_e32 v106, 2, v37
	v_pack_b32_f16 v9, v36, v52
	v_mul_u32_u24_e32 v5, 0xe0, v5
	ds_store_b32 v103, v11 offset:768
	v_and_b32_e32 v11, 0xffff, v21
	v_pack_b32_f16 v28, v53, v54
	v_pack_b32_f16 v29, v123, v124
	v_sub_f16_e32 v8, v8, v40
	ds_store_2addr_b32 v106, v4, v9 offset1:32
	ds_store_2addr_b32 v106, v28, v29 offset0:64 offset1:96
	v_or_b32_e32 v4, v5, v6
	v_mul_u32_u24_e32 v6, 0x2493, v11
	v_pack_b32_f16 v5, v49, v10
	v_pack_b32_f16 v8, v8, v23
	v_add_f16_e64 v40, v136, v56
	v_sub_f16_e64 v56, v112, v140
	v_lshrrev_b32_e32 v6, 16, v6
	v_sub_f16_e64 v132, v114, v50
	ds_store_2addr_b32 v106, v5, v8 offset0:128 offset1:160
	v_add_f16_e64 v133, v20, v115
	v_add_f16_e32 v50, v50, v114
	v_mul_lo_u16 v5, 0xe0, v6
	v_sub_f16_e32 v20, v115, v20
	v_pack_b32_f16 v9, v31, v40
	v_add_f16_e64 v22, v140, v112
	v_lshlrev_b32_e32 v123, 2, v4
	v_sub_nc_u16 v28, v24, v5
	v_pack_b32_f16 v4, v7, v118
	v_pack_b32_f16 v7, v55, v56
	v_pack_b32_f16 v10, v113, v131
	v_pack_b32_f16 v11, v132, v133
	ds_store_b32 v106, v9 offset:768
	ds_store_2addr_b32 v123, v4, v7 offset1:32
	ds_store_2addr_b32 v123, v10, v11 offset0:64 offset1:96
	v_pack_b32_f16 v6, v50, v20
	v_pack_b32_f16 v7, v32, v35
	v_mul_lo_u16 v9, v28, 24
	v_pack_b32_f16 v8, v41, v22
	ds_store_2addr_b32 v123, v6, v7 offset0:128 offset1:160
	ds_store_b32 v123, v8 offset:768
	v_and_b32_e32 v6, 0xffff, v9
	v_mad_co_u64_u32 v[4:5], null, v82, 24, s[2:3]
	global_wb scope:SCOPE_SE
	s_wait_dscnt 0x0
	s_barrier_signal -1
	v_add_co_u32 v20, s1, s2, v6
	s_wait_alu 0xf1ff
	v_add_co_ci_u32_e64 v21, null, s3, 0, s1
	s_barrier_wait -1
	global_inv scope:SCOPE_SE
	s_clause 0x3
	global_load_b128 v[8:11], v[4:5], off offset:864
	global_load_b64 v[22:23], v[4:5], off offset:880
	global_load_b128 v[4:7], v[20:21], off offset:864
	global_load_b64 v[20:21], v[20:21], off offset:880
	ds_load_2addr_b32 v[31:32], v57 offset1:224
	ds_load_2addr_b32 v[35:36], v43 offset1:224
	;; [unrolled: 1-line block ×10, first 2 shown]
	ds_load_b32 v29, v57 offset:17920
	v_and_b32_e32 v28, 0xffff, v28
	global_wb scope:SCOPE_SE
	s_wait_loadcnt_dscnt 0x0
	s_barrier_signal -1
	s_barrier_wait -1
	global_inv scope:SCOPE_SE
	v_lshrrev_b32_e32 v33, 16, v31
	v_lshrrev_b32_e32 v37, 16, v36
	v_lshrrev_b32_e32 v124, 16, v40
	v_lshrrev_b32_e32 v137, 16, v50
	v_lshrrev_b32_e32 v138, 16, v51
	v_lshrrev_b32_e32 v139, 16, v54
	v_lshrrev_b32_e32 v140, 16, v55
	v_lshrrev_b32_e32 v142, 16, v131
	v_lshrrev_b32_e32 v143, 16, v41
	v_lshrrev_b32_e32 v146, 16, v135
	v_lshrrev_b32_e32 v147, 16, v56
	v_lshrrev_b32_e32 v144, 16, v133
	v_lshrrev_b32_e32 v145, 16, v52
	v_lshrrev_b32_e32 v151, 16, v134
	v_lshrrev_b32_e32 v153, 16, v136
	v_lshrrev_b32_e32 v149, 16, v132
	v_lshrrev_b32_e32 v150, 16, v49
	v_lshrrev_b32_e32 v154, 16, v29
	v_lshrrev_b32_e32 v152, 16, v53
	v_lshrrev_b32_e32 v141, 16, v32
	v_lshrrev_b32_e32 v148, 16, v35
	v_lshrrev_b32_e32 v118, 16, v22
	v_lshrrev_b32_e32 v122, 16, v8
	v_lshrrev_b32_e32 v121, 16, v9
	v_lshrrev_b32_e32 v120, 16, v10
	v_lshrrev_b32_e32 v119, 16, v11
	v_lshrrev_b32_e32 v117, 16, v23
	v_mul_f16_e64 v155, v37, v122
	v_mul_f16_e64 v156, v36, v122
	;; [unrolled: 1-line block ×11, first 2 shown]
	v_lshrrev_b32_e32 v114, 16, v6
	v_lshrrev_b32_e32 v112, 16, v20
	v_mul_f16_e64 v158, v40, v121
	v_mul_f16_e64 v160, v50, v120
	;; [unrolled: 1-line block ×13, first 2 shown]
	v_fma_f16 v36, v36, v8, -v155
	v_fmac_f16_e64 v156, v37, v8
	v_fma_f16 v37, v40, v9, -v157
	v_fma_f16 v40, v50, v10, -v159
	;; [unrolled: 1-line block ×9, first 2 shown]
	v_lshrrev_b32_e32 v116, 16, v4
	v_lshrrev_b32_e32 v115, 16, v5
	;; [unrolled: 1-line block ×3, first 2 shown]
	v_mul_f16_e64 v183, v151, v114
	v_mul_f16_e64 v187, v153, v112
	v_fmac_f16_e64 v158, v124, v9
	v_fmac_f16_e64 v160, v137, v10
	v_fmac_f16_e64 v162, v138, v11
	v_fmac_f16_e64 v164, v139, v22
	v_fmac_f16_e64 v166, v140, v23
	v_fmac_f16_e64 v168, v142, v8
	v_fmac_f16_e64 v170, v143, v9
	v_fma_f16 v124, v133, v10, -v171
	v_fmac_f16_e64 v172, v144, v10
	v_fma_f16 v52, v52, v11, -v173
	v_fmac_f16_e64 v174, v145, v11
	v_fmac_f16_e64 v176, v146, v22
	;; [unrolled: 1-line block ×3, first 2 shown]
	v_add_f16_e64 v135, v36, v54
	v_sub_f16_e32 v36, v36, v54
	v_add_f16_e64 v137, v37, v51
	v_sub_f16_e32 v37, v37, v51
	;; [unrolled: 2-line block ×3, first 2 shown]
	v_add_f16_e64 v142, v55, v56
	v_add_f16_e64 v144, v41, v131
	v_lshrrev_b32_e32 v113, 16, v7
	v_mul_f16_e64 v179, v149, v116
	v_mul_f16_e64 v180, v132, v116
	v_mul_f16_e64 v181, v150, v115
	v_mul_f16_e64 v182, v49, v115
	v_mul_f16_e64 v184, v134, v114
	v_mul_f16_e64 v188, v136, v112
	v_mul_f16_e64 v189, v154, v111
	v_mul_f16_e64 v190, v29, v111
	v_fma_f16 v133, v134, v6, -v183
	v_fma_f16 v134, v136, v20, -v187
	v_add_f16_e64 v136, v156, v166
	v_sub_f16_e64 v54, v156, v166
	v_add_f16_e64 v138, v158, v164
	v_sub_f16_e64 v51, v158, v164
	;; [unrolled: 2-line block ×3, first 2 shown]
	v_add_f16_e64 v143, v168, v178
	v_sub_f16_e32 v55, v55, v56
	v_sub_f16_e64 v56, v168, v178
	v_add_f16_e64 v145, v170, v176
	v_sub_f16_e64 v41, v41, v131
	v_sub_f16_e64 v131, v170, v176
	v_add_f16_e64 v146, v124, v52
	v_sub_f16_e32 v52, v52, v124
	v_sub_f16_e64 v124, v174, v172
	v_add_f16_e64 v155, v137, v135
	v_sub_f16_e64 v157, v137, v135
	v_sub_f16_e64 v135, v135, v139
	;; [unrolled: 1-line block ×3, first 2 shown]
	v_add_f16_e64 v159, v40, v37
	v_sub_f16_e64 v161, v40, v37
	v_sub_f16_e32 v37, v37, v36
	v_add_f16_e64 v163, v144, v142
	v_mul_f16_e64 v185, v152, v113
	v_mul_f16_e64 v186, v53, v113
	v_fma_f16 v132, v132, v4, -v179
	v_fmac_f16_e64 v180, v149, v4
	v_fma_f16 v49, v49, v5, -v181
	v_fmac_f16_e64 v182, v150, v5
	v_fmac_f16_e64 v188, v153, v20
	v_fma_f16 v29, v29, v21, -v189
	v_fmac_f16_e64 v190, v154, v21
	v_add_f16_e64 v147, v172, v174
	v_add_f16_e64 v156, v138, v136
	v_sub_f16_e64 v158, v138, v136
	v_sub_f16_e64 v136, v136, v140
	v_sub_f16_e64 v138, v140, v138
	v_add_f16_e64 v160, v50, v51
	v_sub_f16_e64 v162, v50, v51
	v_sub_f16_e32 v40, v36, v40
	v_sub_f16_e32 v51, v51, v54
	v_add_f16_e64 v164, v145, v143
	v_sub_f16_e64 v165, v144, v142
	v_sub_f16_e64 v142, v142, v146
	;; [unrolled: 1-line block ×3, first 2 shown]
	v_add_f16_e64 v167, v52, v41
	v_add_f16_e64 v168, v124, v131
	v_sub_f16_e64 v169, v52, v41
	v_sub_f16_e64 v170, v124, v131
	v_sub_f16_e32 v41, v41, v55
	v_sub_f16_e64 v131, v131, v56
	v_add_f16_e64 v139, v139, v155
	v_add_f16_e64 v36, v159, v36
	v_mul_f16_e64 v135, 0x3a52, v135
	v_mul_f16_e64 v155, 0x2b26, v137
	;; [unrolled: 1-line block ×4, first 2 shown]
	v_add_f16_e64 v146, v146, v163
	v_fmac_f16_e64 v184, v151, v6
	v_fma_f16 v53, v53, v7, -v185
	v_fmac_f16_e64 v186, v152, v7
	v_add_f16_e64 v149, v132, v29
	v_add_f16_e64 v150, v180, v190
	;; [unrolled: 1-line block ×4, first 2 shown]
	v_sub_f16_e32 v50, v54, v50
	v_sub_f16_e64 v166, v145, v143
	v_sub_f16_e64 v143, v143, v147
	;; [unrolled: 1-line block ×3, first 2 shown]
	v_sub_f16_e32 v52, v55, v52
	v_sub_f16_e32 v124, v56, v124
	v_add_f16_e64 v140, v140, v156
	v_add_f16_e64 v54, v160, v54
	v_mul_f16_e64 v136, 0x3a52, v136
	v_mul_f16_e64 v156, 0x2b26, v138
	;; [unrolled: 1-line block ×4, first 2 shown]
	v_add_f16_e64 v147, v147, v164
	v_add_f16_e64 v55, v167, v55
	;; [unrolled: 1-line block ×3, first 2 shown]
	v_mul_f16_e64 v142, 0x3a52, v142
	v_mul_f16_e64 v163, 0x2b26, v144
	;; [unrolled: 1-line block ×6, first 2 shown]
	v_add_f16_e64 v31, v31, v139
	v_fma_f16 v137, 0x2b26, v137, v135
	v_fma_f16 v155, v157, 0x39e0, -v155
	v_fma_f16 v135, v157, 0xb9e0, -v135
	v_fma_f16 v157, 0x3574, v40, v159
	v_fma_f16 v37, v37, 0x3b00, -v159
	v_fma_f16 v40, v40, 0xb574, -v161
	v_add_f16_e64 v32, v32, v146
	v_sub_f16_e64 v49, v49, v134
	v_sub_f16_e64 v134, v182, v188
	v_add_f16_e64 v153, v133, v53
	v_add_f16_e64 v154, v184, v186
	v_sub_f16_e64 v53, v53, v133
	v_sub_f16_e64 v133, v186, v184
	v_add_f16_e64 v171, v151, v149
	v_add_f16_e64 v172, v152, v150
	v_mul_f16_e64 v143, 0x3a52, v143
	v_mul_f16_e64 v164, 0x2b26, v145
	v_add_f16_e64 v33, v33, v140
	v_fma_f16 v138, 0x2b26, v138, v136
	v_fma_f16 v156, v158, 0x39e0, -v156
	v_fma_f16 v136, v158, 0xb9e0, -v136
	v_fma_f16 v158, 0x3574, v50, v160
	v_fma_f16 v51, v51, 0x3b00, -v160
	v_fma_f16 v50, v50, 0xb574, -v162
	v_add_f16_e64 v141, v141, v147
	v_fma_f16 v144, 0x2b26, v144, v142
	v_fma_f16 v159, v165, 0x39e0, -v163
	v_fma_f16 v142, v165, 0xb9e0, -v142
	v_fma_f16 v161, 0x3574, v52, v167
	v_fma_f16 v162, 0x3574, v124, v168
	v_fma_f16 v41, v41, 0x3b00, -v167
	v_fma_f16 v52, v52, 0xb574, -v169
	;; [unrolled: 1-line block ×3, first 2 shown]
	v_fma_f16 v139, 0xbcab, v139, v31
	v_fmac_f16_e64 v157, 0x370e, v36
	v_fmac_f16_e32 v37, 0x370e, v36
	v_fmac_f16_e32 v40, 0x370e, v36
	v_fma_f16 v36, 0xbcab, v146, v32
	v_sub_f16_e64 v29, v132, v29
	v_sub_f16_e64 v132, v180, v190
	;; [unrolled: 1-line block ×9, first 2 shown]
	v_add_f16_e64 v153, v153, v171
	v_add_f16_e64 v154, v154, v172
	v_fma_f16 v145, 0x2b26, v145, v143
	v_fma_f16 v160, v166, 0x39e0, -v164
	v_fma_f16 v143, v166, 0xb9e0, -v143
	v_fma_f16 v131, v131, 0x3b00, -v168
	v_fma_f16 v140, 0xbcab, v140, v33
	v_fmac_f16_e64 v158, 0x370e, v54
	v_fmac_f16_e32 v51, 0x370e, v54
	v_fmac_f16_e32 v50, 0x370e, v54
	v_fma_f16 v54, 0xbcab, v147, v141
	v_fmac_f16_e64 v161, 0x370e, v55
	v_fmac_f16_e32 v41, 0x370e, v55
	v_fmac_f16_e32 v52, 0x370e, v55
	;; [unrolled: 1-line block ×3, first 2 shown]
	v_add_f16_e64 v55, v137, v139
	v_add_f16_e64 v137, v155, v139
	;; [unrolled: 1-line block ×8, first 2 shown]
	v_sub_f16_e64 v177, v53, v49
	v_sub_f16_e64 v133, v132, v133
	;; [unrolled: 1-line block ×3, first 2 shown]
	v_mul_f16_e64 v171, 0x2b26, v151
	v_add_f16_e64 v35, v35, v153
	v_add_f16_e64 v148, v148, v154
	v_fmac_f16_e64 v162, 0x370e, v56
	v_fmac_f16_e64 v131, 0x370e, v56
	v_add_f16_e64 v56, v138, v140
	v_add_f16_e64 v138, v156, v140
	;; [unrolled: 1-line block ×6, first 2 shown]
	v_sub_f16_e64 v155, v137, v51
	v_add_f16_e64 v51, v51, v137
	v_add_f16_e64 v137, v124, v36
	v_sub_f16_e32 v36, v36, v124
	v_mul_f16_e64 v124, 0xb846, v178
	v_sub_f16_e32 v49, v49, v29
	v_sub_f16_e32 v53, v29, v53
	v_add_f16_e64 v29, v175, v29
	v_add_f16_e64 v132, v176, v132
	v_mul_f16_e64 v149, 0x3a52, v149
	v_mul_f16_e64 v150, 0x3a52, v150
	;; [unrolled: 1-line block ×4, first 2 shown]
	v_add_f16_e64 v142, v158, v55
	v_sub_f16_e64 v143, v56, v157
	v_add_f16_e64 v146, v50, v135
	v_sub_f16_e64 v147, v136, v40
	;; [unrolled: 2-line block ×3, first 2 shown]
	v_sub_f16_e64 v50, v135, v50
	v_add_f16_e64 v40, v40, v136
	v_sub_f16_e64 v55, v55, v158
	v_add_f16_e64 v56, v157, v56
	v_add_f16_e64 v135, v162, v139
	v_sub_f16_e64 v136, v140, v161
	v_sub_f16_e64 v138, v54, v52
	;; [unrolled: 1-line block ×3, first 2 shown]
	v_add_f16_e64 v158, v41, v145
	v_add_f16_e64 v131, v131, v144
	v_sub_f16_e64 v41, v145, v41
	v_add_f16_e32 v52, v52, v54
	v_sub_f16_e64 v54, v139, v162
	v_add_f16_e64 v139, v161, v140
	v_mul_f16_e64 v144, 0x3b00, v134
	v_fma_f16 v145, 0xbcab, v153, v35
	v_fma_f16 v153, 0xbcab, v154, v148
	v_fma_f16 v154, v173, 0x39e0, -v171
	v_fma_f16 v161, 0x3574, v133, v124
	v_fma_f16 v124, v134, 0x3b00, -v124
	v_mul_f16_e64 v140, 0x3b00, v49
	v_fma_f16 v151, 0x2b26, v151, v149
	v_fma_f16 v152, 0x2b26, v152, v150
	v_fma_f16 v159, v174, 0x39e0, -v172
	v_fma_f16 v149, v173, 0xb9e0, -v149
	;; [unrolled: 1-line block ×3, first 2 shown]
	v_fma_f16 v160, 0x3574, v53, v175
	v_fma_f16 v133, v133, 0xb574, -v144
	v_add_f16_e64 v144, v154, v145
	v_fmac_f16_e64 v124, 0x370e, v132
	v_fma_f16 v49, v49, 0x3b00, -v175
	v_fma_f16 v53, v53, 0xb574, -v140
	v_pack_b32_f16 v31, v31, v33
	v_pack_b32_f16 v33, v142, v143
	v_add_f16_e64 v134, v151, v145
	v_add_f16_e64 v140, v152, v153
	v_add_f16_e64 v151, v159, v153
	v_add_f16_e64 v145, v149, v145
	v_add_f16_e64 v149, v150, v153
	v_fmac_f16_e64 v160, 0x370e, v29
	v_fmac_f16_e64 v161, 0x370e, v132
	v_sub_f16_e64 v153, v144, v124
	v_add_f16_e64 v144, v124, v144
	v_pack_b32_f16 v124, v146, v147
	v_pack_b32_f16 v142, v155, v156
	v_fmac_f16_e32 v49, 0x370e, v29
	v_fmac_f16_e64 v133, 0x370e, v132
	v_fmac_f16_e32 v53, 0x370e, v29
	ds_store_2addr_b32 v57, v31, v33 offset1:224
	ds_store_2addr_b32 v43, v124, v142 offset1:224
	v_pack_b32_f16 v31, v51, v37
	v_pack_b32_f16 v33, v50, v40
	v_add_f16_e64 v29, v161, v134
	v_sub_f16_e64 v132, v140, v160
	v_pack_b32_f16 v37, v55, v56
	v_pack_b32_f16 v32, v32, v141
	v_lshlrev_b32_e32 v124, 2, v28
	v_add_f16_e64 v150, v133, v145
	v_sub_f16_e64 v152, v149, v53
	v_add_f16_e64 v154, v49, v151
	v_pack_b32_f16 v40, v135, v136
	v_pack_b32_f16 v50, v137, v138
	v_sub_f16_e64 v49, v151, v49
	v_sub_f16_e64 v133, v145, v133
	v_add_f16_e64 v53, v53, v149
	v_pack_b32_f16 v51, v157, v158
	v_pack_b32_f16 v41, v131, v41
	v_sub_f16_e64 v134, v134, v161
	v_add_f16_e64 v140, v160, v140
	ds_store_2addr_b32 v45, v31, v33 offset1:224
	ds_store_2addr_b32 v38, v37, v32 offset1:224
	;; [unrolled: 1-line block ×4, first 2 shown]
	v_pack_b32_f16 v28, v36, v52
	v_pack_b32_f16 v31, v54, v139
	;; [unrolled: 1-line block ×4, first 2 shown]
	v_add_nc_u32_e32 v33, 0x3100, v124
	v_pack_b32_f16 v35, v150, v152
	v_pack_b32_f16 v36, v153, v154
	v_add_nc_u32_e32 v37, 0x3800, v124
	v_pack_b32_f16 v40, v144, v49
	v_pack_b32_f16 v41, v133, v53
	v_add_nc_u32_e32 v49, 0x3f00, v124
	v_pack_b32_f16 v50, v134, v140
	ds_store_2addr_b32 v42, v28, v31 offset1:224
	ds_store_2addr_b32 v33, v32, v29 offset1:224
	;; [unrolled: 1-line block ×4, first 2 shown]
	ds_store_b32 v124, v50 offset:17920
	v_add_co_u32 v28, s1, s2, v26
	s_wait_alu 0xf1ff
	v_add_co_ci_u32_e64 v29, null, s3, 0, s1
	v_add_co_u32 v25, s1, s2, v25
	s_wait_alu 0xf1ff
	v_add_co_ci_u32_e64 v26, null, s3, 0, s1
	v_lshlrev_b32_e32 v145, 3, v24
	v_lshlrev_b32_e32 v24, 3, v30
	global_wb scope:SCOPE_SE
	s_wait_dscnt 0x0
	s_barrier_signal -1
	s_barrier_wait -1
	global_inv scope:SCOPE_SE
	s_clause 0x2
	global_load_b64 v[28:29], v[28:29], off offset:6240
	global_load_b64 v[30:31], v[25:26], off offset:6240
	global_load_b64 v[32:33], v145, s[2:3] offset:6240
	v_lshlrev_b32_e32 v25, 3, v27
	v_lshlrev_b32_e32 v26, 3, v34
	global_load_b64 v[34:35], v24, s[2:3] offset:6240
	v_lshl_add_u32 v24, v82, 3, 0x2a00
	s_clause 0x2
	global_load_b64 v[36:37], v25, s[2:3] offset:6240
	global_load_b64 v[26:27], v26, s[2:3] offset:6240
	;; [unrolled: 1-line block ×3, first 2 shown]
	ds_load_2addr_b32 v[49:50], v57 offset1:224
	ds_load_2addr_b32 v[40:41], v38 offset1:224
	;; [unrolled: 1-line block ×10, first 2 shown]
	ds_load_b32 v156, v57 offset:17920
	s_add_nc_u64 s[2:3], s[12:13], 0x4980
	s_wait_dscnt 0xa
	v_lshrrev_b32_e32 v157, 16, v49
	s_wait_dscnt 0x9
	v_lshrrev_b32_e32 v158, 16, v41
	;; [unrolled: 2-line block ×4, first 2 shown]
	v_lshrrev_b32_e32 v162, 16, v52
	v_lshrrev_b32_e32 v164, 16, v54
	s_wait_dscnt 0x5
	v_lshrrev_b32_e32 v165, 16, v148
	s_wait_dscnt 0x4
	v_lshrrev_b32_e32 v167, 16, v150
	v_lshrrev_b32_e32 v168, 16, v149
	;; [unrolled: 1-line block ×3, first 2 shown]
	s_wait_dscnt 0x2
	v_lshrrev_b32_e32 v171, 16, v152
	s_wait_dscnt 0x1
	v_lshrrev_b32_e32 v172, 16, v154
	v_lshrrev_b32_e32 v173, 16, v153
	;; [unrolled: 1-line block ×3, first 2 shown]
	s_wait_dscnt 0x0
	v_lshrrev_b32_e32 v175, 16, v156
	v_lshrrev_b32_e32 v160, 16, v50
	v_lshrrev_b32_e32 v163, 16, v55
	v_lshrrev_b32_e32 v166, 16, v56
	v_lshrrev_b32_e32 v169, 16, v38
	v_lshrrev_b32_e32 v146, 16, v39
	v_lshrrev_b32_e32 v147, 16, v40
	s_wait_loadcnt 0x6
	v_lshrrev_b32_e32 v144, 16, v28
	v_lshrrev_b32_e32 v143, 16, v29
	s_wait_loadcnt 0x5
	v_lshrrev_b32_e32 v142, 16, v30
	v_lshrrev_b32_e32 v141, 16, v31
	;; [unrolled: 3-line block ×7, first 2 shown]
	v_mul_f16_e64 v176, v158, v144
	v_mul_f16_e64 v177, v41, v144
	;; [unrolled: 1-line block ×28, first 2 shown]
	v_fma_f16 v51, v51, v29, -v178
	v_fmac_f16_e64 v177, v158, v28
	v_fmac_f16_e64 v179, v159, v29
	v_fma_f16 v41, v41, v28, -v176
	v_fma_f16 v52, v52, v31, -v182
	;; [unrolled: 1-line block ×3, first 2 shown]
	v_fmac_f16_e64 v181, v161, v30
	v_fmac_f16_e64 v183, v162, v31
	v_fma_f16 v54, v54, v32, -v184
	v_fmac_f16_e64 v185, v164, v32
	v_fmac_f16_e64 v187, v165, v33
	v_fma_f16 v148, v148, v33, -v186
	v_fma_f16 v150, v150, v34, -v188
	v_fmac_f16_e64 v189, v167, v34
	v_fma_f16 v149, v149, v35, -v190
	v_fmac_f16_e64 v191, v168, v35
	;; [unrolled: 2-line block ×8, first 2 shown]
	v_add_f16_e64 v159, v41, v51
	v_add_f16_e64 v164, v177, v179
	;; [unrolled: 1-line block ×7, first 2 shown]
	v_sub_f16_e64 v161, v177, v179
	v_add_f16_e64 v162, v157, v177
	v_sub_f16_e32 v41, v41, v51
	v_sub_f16_e64 v168, v181, v183
	v_add_f16_e64 v170, v160, v181
	v_sub_f16_e64 v174, v185, v187
	v_add_f16_e64 v175, v163, v185
	v_add_f16_e64 v178, v150, v149
	v_sub_f16_e64 v180, v189, v191
	v_add_f16_e64 v181, v166, v189
	v_add_f16_e64 v182, v189, v191
	v_add_f16_e64 v185, v151, v152
	v_sub_f16_e64 v186, v193, v195
	v_add_f16_e64 v188, v169, v193
	v_add_f16_e64 v189, v193, v195
	v_add_f16_e64 v192, v154, v153
	v_sub_f16_e64 v193, v197, v199
	v_add_f16_e64 v194, v146, v197
	v_add_f16_e64 v196, v197, v199
	v_add_f16_e64 v197, v40, v155
	;; [unrolled: 1-line block ×3, first 2 shown]
	v_sub_f16_e64 v200, v201, v203
	v_add_f16_e64 v202, v147, v201
	v_add_f16_e64 v201, v201, v203
	v_fmac_f16_e64 v157, -0.5, v164
	v_fma_f16 v49, -0.5, v159, v49
	v_add_f16_e64 v165, v50, v53
	v_sub_f16_e32 v53, v53, v52
	v_fmac_f16_e64 v50, -0.5, v167
	v_fmac_f16_e64 v160, -0.5, v171
	v_add_f16_e64 v172, v55, v54
	v_sub_f16_e64 v54, v54, v148
	v_fmac_f16_e64 v163, -0.5, v176
	v_fma_f16 v55, -0.5, v173, v55
	v_add_f16_e64 v177, v56, v150
	v_sub_f16_e64 v150, v150, v149
	v_add_f16_e64 v184, v38, v151
	v_sub_f16_e64 v151, v151, v152
	;; [unrolled: 2-line block ×3, first 2 shown]
	v_sub_f16_e64 v155, v155, v156
	v_fmac_f16_e64 v56, -0.5, v178
	v_fmac_f16_e64 v166, -0.5, v182
	v_fma_f16 v171, -0.5, v185, v38
	v_fmac_f16_e64 v169, -0.5, v189
	v_fmac_f16_e64 v39, -0.5, v192
	;; [unrolled: 1-line block ×3, first 2 shown]
	v_add_f16_e64 v38, v197, v156
	v_fmac_f16_e64 v40, -0.5, v198
	v_fmac_f16_e64 v147, -0.5, v201
	v_fma_f16 v156, 0x3aee, v161, v49
	v_fmac_f16_e64 v49, 0xbaee, v161
	v_fma_f16 v161, 0xbaee, v41, v157
	v_fmac_f16_e64 v157, 0x3aee, v41
	v_add_f16_e64 v51, v158, v51
	v_add_f16_e64 v158, v162, v179
	;; [unrolled: 1-line block ×4, first 2 shown]
	v_fma_f16 v41, 0x3aee, v168, v50
	v_fmac_f16_e64 v50, 0xbaee, v168
	v_fma_f16 v168, 0xbaee, v53, v160
	v_fmac_f16_e64 v160, 0x3aee, v53
	;; [unrolled: 2-line block ×3, first 2 shown]
	v_fma_f16 v174, 0xbaee, v54, v163
	v_add_f16_e64 v164, v172, v148
	v_add_f16_e64 v165, v175, v187
	;; [unrolled: 1-line block ×9, first 2 shown]
	v_fmac_f16_e64 v163, 0x3aee, v54
	v_fma_f16 v54, 0x3aee, v180, v56
	v_fmac_f16_e64 v56, 0xbaee, v180
	v_fma_f16 v175, 0xbaee, v150, v166
	v_fmac_f16_e64 v166, 0x3aee, v150
	v_fma_f16 v176, 0x3aee, v186, v171
	v_fmac_f16_e64 v171, 0xbaee, v186
	v_fma_f16 v177, 0xbaee, v151, v169
	v_fmac_f16_e64 v169, 0x3aee, v151
	v_fma_f16 v149, 0x3aee, v193, v39
	v_fmac_f16_e64 v39, 0xbaee, v193
	v_fma_f16 v152, 0xbaee, v154, v146
	v_fmac_f16_e64 v146, 0x3aee, v154
	v_fma_f16 v150, 0x3aee, v200, v40
	v_fmac_f16_e64 v40, 0xbaee, v200
	v_fma_f16 v151, 0xbaee, v155, v147
	v_fmac_f16_e64 v147, 0x3aee, v155
	v_pack_b32_f16 v156, v156, v161
	v_pack_b32_f16 v49, v49, v157
	;; [unrolled: 1-line block ×21, first 2 shown]
	ds_store_b32 v57, v156 offset:6272
	ds_store_b32 v57, v49 offset:12544
	ds_store_2addr_b32 v57, v51, v52 offset1:224
	ds_store_b32 v57, v50 offset:13440
	ds_store_2addr_b32 v46, v41, v53 offset1:224
	ds_store_2addr_b32 v43, v154, v155 offset1:224
	;; [unrolled: 1-line block ×6, first 2 shown]
	ds_store_b32 v57, v159 offset:5376
	ds_store_2addr_b32 v42, v161, v163 offset1:224
	ds_store_b32 v57, v164 offset:17920
	global_wb scope:SCOPE_SE
	s_wait_dscnt 0x0
	s_barrier_signal -1
	s_barrier_wait -1
	global_inv scope:SCOPE_SE
	s_clause 0xf
	global_load_b32 v45, v[15:16], off offset:18816
	global_load_b32 v46, v57, s[2:3] offset:896
	global_load_b32 v48, v57, s[2:3] offset:2352
	;; [unrolled: 1-line block ×15, first 2 shown]
	ds_load_2addr_b32 v[43:44], v57 offset1:224
	v_add_nc_u32_e32 v41, 0x900, v57
	v_add_nc_u32_e32 v42, 0x1200, v57
	;; [unrolled: 1-line block ×3, first 2 shown]
	s_wait_dscnt 0x0
	v_lshrrev_b32_e32 v50, 16, v43
	v_lshrrev_b32_e32 v52, 16, v44
	s_wait_loadcnt 0xe
	v_lshrrev_b32_e32 v51, 16, v46
	s_wait_loadcnt 0xd
	;; [unrolled: 2-line block ×5, first 2 shown]
	v_lshrrev_b32_e32 v176, 16, v161
	v_mul_f16_e32 v55, v52, v51
	v_mul_f16_e32 v56, v44, v51
	v_add_nc_u32_e32 v51, 0x3700, v57
	s_wait_loadcnt 0x6
	v_lshrrev_b32_e32 v182, 16, v165
	s_wait_loadcnt 0x5
	v_lshrrev_b32_e32 v181, 16, v166
	v_fma_f16 v44, v44, v46, -v55
	v_fmac_f16_e32 v56, v52, v46
	v_add_nc_u32_e32 v52, 0x4000, v57
	v_lshrrev_b32_e32 v49, 16, v45
	s_wait_loadcnt 0x4
	v_lshrrev_b32_e32 v180, 16, v167
	s_wait_loadcnt 0x0
	v_lshrrev_b32_e32 v183, 16, v171
	v_pack_b32_f16 v174, v44, v56
	v_lshrrev_b32_e32 v177, 16, v162
	v_mul_f16_e32 v53, v50, v49
	v_mul_f16_e32 v54, v43, v49
	v_add_nc_u32_e32 v49, 0x2480, v57
	ds_store_b32 v57, v174 offset:896
	v_lshrrev_b32_e32 v184, 16, v170
	v_fma_f16 v43, v43, v45, -v53
	v_fmac_f16_e32 v54, v50, v45
	v_add_nc_u32_e32 v50, 0x2d80, v57
	v_lshrrev_b32_e32 v178, 16, v163
	v_lshrrev_b32_e32 v179, 16, v164
	;; [unrolled: 1-line block ×3, first 2 shown]
	v_pack_b32_f16 v43, v43, v54
	v_lshrrev_b32_e32 v186, 16, v168
	ds_store_b32 v57, v43
	ds_load_2addr_b32 v[43:44], v41 offset0:12 offset1:236
	ds_load_2addr_b32 v[45:46], v42 offset0:24 offset1:248
	;; [unrolled: 1-line block ×7, first 2 shown]
	s_wait_dscnt 0x6
	v_lshrrev_b32_e32 v174, 16, v43
	v_mul_f16_e64 v187, v43, v172
	v_lshrrev_b32_e32 v191, 16, v44
	s_wait_dscnt 0x5
	v_lshrrev_b32_e32 v188, 16, v45
	v_lshrrev_b32_e32 v202, 16, v46
	s_wait_dscnt 0x4
	v_lshrrev_b32_e32 v190, 16, v53
	;; [unrolled: 3-line block ×4, first 2 shown]
	v_lshrrev_b32_e32 v208, 16, v154
	v_mul_f16_e64 v195, v44, v180
	s_wait_dscnt 0x1
	v_lshrrev_b32_e32 v198, 16, v155
	s_wait_dscnt 0x0
	v_lshrrev_b32_e32 v200, 16, v157
	v_lshrrev_b32_e32 v210, 16, v156
	;; [unrolled: 1-line block ×3, first 2 shown]
	v_mul_f16_e64 v172, v174, v172
	v_fmac_f16_e64 v187, v174, v48
	v_mul_f16_e64 v174, v191, v180
	v_mul_f16_e64 v189, v45, v173
	;; [unrolled: 1-line block ×21, first 2 shown]
	v_fmac_f16_e64 v195, v191, v167
	v_mul_f16_e64 v178, v198, v178
	v_mul_f16_e64 v179, v200, v179
	;; [unrolled: 1-line block ×4, first 2 shown]
	v_fma_f16 v43, v43, v48, -v172
	v_fma_f16 v44, v44, v167, -v174
	v_fmac_f16_e64 v189, v188, v159
	v_fmac_f16_e64 v203, v202, v166
	v_fma_f16 v45, v45, v159, -v173
	v_fma_f16 v46, v46, v166, -v180
	v_fmac_f16_e64 v192, v190, v160
	v_fmac_f16_e64 v205, v204, v165
	;; [unrolled: 4-line block ×5, first 2 shown]
	v_fmac_f16_e64 v211, v210, v169
	v_fmac_f16_e64 v213, v212, v168
	v_fma_f16 v153, v155, v163, -v178
	v_fma_f16 v155, v157, v164, -v179
	;; [unrolled: 1-line block ×4, first 2 shown]
	v_pack_b32_f16 v43, v43, v187
	v_pack_b32_f16 v44, v44, v195
	v_pack_b32_f16 v45, v45, v189
	v_pack_b32_f16 v46, v46, v203
	v_pack_b32_f16 v48, v48, v192
	v_pack_b32_f16 v54, v54, v205
	v_pack_b32_f16 v53, v53, v194
	v_pack_b32_f16 v56, v56, v207
	v_pack_b32_f16 v55, v55, v197
	v_pack_b32_f16 v154, v154, v209
	v_pack_b32_f16 v153, v153, v199
	v_pack_b32_f16 v155, v155, v201
	v_pack_b32_f16 v156, v156, v211
	v_pack_b32_f16 v157, v157, v213
	ds_store_2addr_b32 v41, v43, v44 offset0:12 offset1:236
	ds_store_2addr_b32 v42, v45, v46 offset0:24 offset1:248
	;; [unrolled: 1-line block ×7, first 2 shown]
	s_and_saveexec_b32 s1, vcc_lo
	s_cbranch_execz .LBB0_15
; %bb.14:
	s_wait_alu 0xfffe
	v_add_co_u32 v43, s2, s2, v57
	s_wait_alu 0xf1ff
	v_add_co_ci_u32_e64 v44, null, s3, 0, s2
	s_clause 0x7
	global_load_b32 v45, v[43:44], off offset:1792
	global_load_b32 v46, v[43:44], off offset:4144
	;; [unrolled: 1-line block ×8, first 2 shown]
	ds_load_b32 v44, v57 offset:1792
	ds_load_b32 v153, v57 offset:4144
	;; [unrolled: 1-line block ×8, first 2 shown]
	s_wait_dscnt 0x7
	v_lshrrev_b32_e32 v160, 16, v44
	s_wait_dscnt 0x6
	v_lshrrev_b32_e32 v161, 16, v153
	;; [unrolled: 2-line block ×8, first 2 shown]
	s_wait_loadcnt 0x7
	v_lshrrev_b32_e32 v168, 16, v45
	s_wait_loadcnt 0x6
	v_lshrrev_b32_e32 v169, 16, v46
	;; [unrolled: 2-line block ×8, first 2 shown]
	v_mul_f16_e64 v176, v160, v168
	v_mul_f16_e64 v168, v44, v168
	;; [unrolled: 1-line block ×16, first 2 shown]
	v_fma_f16 v44, v44, v45, -v176
	v_fmac_f16_e64 v168, v160, v45
	v_fma_f16 v45, v153, v46, -v177
	v_fmac_f16_e64 v169, v161, v46
	;; [unrolled: 2-line block ×8, first 2 shown]
	v_pack_b32_f16 v43, v44, v168
	v_pack_b32_f16 v44, v45, v169
	;; [unrolled: 1-line block ×8, first 2 shown]
	ds_store_b32 v57, v43 offset:1792
	ds_store_b32 v57, v44 offset:4144
	;; [unrolled: 1-line block ×8, first 2 shown]
.LBB0_15:
	s_wait_alu 0xfffe
	s_or_b32 exec_lo, exec_lo, s1
	global_wb scope:SCOPE_SE
	s_wait_dscnt 0x0
	s_barrier_signal -1
	s_barrier_wait -1
	global_inv scope:SCOPE_SE
	ds_load_2addr_b32 v[45:46], v57 offset1:224
	ds_load_2addr_b32 v[43:44], v41 offset0:12 offset1:236
	ds_load_2addr_b32 v[41:42], v42 offset0:24 offset1:248
	;; [unrolled: 1-line block ×7, first 2 shown]
	s_and_saveexec_b32 s1, vcc_lo
	s_cbranch_execz .LBB0_17
; %bb.16:
	ds_load_b32 v149, v57 offset:1792
	ds_load_b32 v39, v57 offset:4144
	;; [unrolled: 1-line block ×8, first 2 shown]
	s_wait_dscnt 0x7
	v_lshrrev_b32_e32 v152, 16, v149
	s_wait_dscnt 0x6
	v_lshrrev_b32_e32 v146, 16, v39
	;; [unrolled: 2-line block ×8, first 2 shown]
.LBB0_17:
	s_wait_alu 0xfffe
	s_or_b32 exec_lo, exec_lo, s1
	s_wait_dscnt 0x1
	v_pk_add_f16 v153, v41, v53 neg_lo:[0,1] neg_hi:[0,1]
	s_wait_dscnt 0x0
	v_pk_add_f16 v154, v47, v51 neg_lo:[0,1] neg_hi:[0,1]
	v_pk_add_f16 v155, v45, v55 neg_lo:[0,1] neg_hi:[0,1]
	;; [unrolled: 1-line block ×4, first 2 shown]
	v_lshrrev_b32_e32 v49, 16, v153
	v_lshrrev_b32_e32 v51, 16, v154
	;; [unrolled: 1-line block ×4, first 2 shown]
	v_pk_add_f16 v158, v42, v54 neg_lo:[0,1] neg_hi:[0,1]
	v_add_f16_e64 v49, v155, v49
	v_add_f16_e64 v51, v156, v51
	v_sub_f16_e64 v54, v53, v153
	v_sub_f16_e64 v56, v55, v154
	v_pk_add_f16 v161, v44, v50 neg_lo:[0,1] neg_hi:[0,1]
	v_fma_f16 v159, v155, 2.0, -v49
	v_fma_f16 v160, v156, 2.0, -v51
	v_pk_add_f16 v162, v48, v52 neg_lo:[0,1] neg_hi:[0,1]
	v_fma_f16 v50, v53, 2.0, -v54
	v_fma_f16 v52, v55, 2.0, -v56
	v_lshrrev_b32_e32 v55, 16, v157
	v_fma_f16 v163, 0xb9a8, v160, v159
	v_lshrrev_b32_e32 v53, 16, v158
	v_lshrrev_b32_e32 v164, 16, v162
	v_fma_f16 v165, 0xb9a8, v52, v50
	v_fma_f16 v169, 0x39a8, v51, v49
	v_fmac_f16_e64 v163, 0x39a8, v52
	v_lshrrev_b32_e32 v52, 16, v161
	v_add_f16_e64 v53, v157, v53
	v_fmac_f16_e64 v165, 0xb9a8, v160
	v_sub_f16_e64 v160, v55, v158
	v_add_f16_e64 v164, v161, v164
	v_sub_f16_e64 v166, v52, v162
	v_fma_f16 v167, v157, 2.0, -v53
	v_fma_f16 v170, 0x39a8, v56, v54
	v_fma_f16 v55, v55, 2.0, -v160
	v_fma_f16 v168, v161, 2.0, -v164
	;; [unrolled: 1-line block ×3, first 2 shown]
	v_fma_f16 v175, 0x39a8, v164, v53
	v_fmac_f16_e64 v169, 0x39a8, v56
	v_fma_f16 v172, v50, 2.0, -v165
	v_fma_f16 v171, 0xb9a8, v168, v167
	v_fma_f16 v173, 0xb9a8, v52, v55
	v_fmac_f16_e64 v170, 0xb9a8, v51
	v_fma_f16 v176, 0x39a8, v166, v160
	v_fmac_f16_e64 v175, 0x39a8, v166
	v_fmac_f16_e64 v171, 0x39a8, v52
	;; [unrolled: 1-line block ×3, first 2 shown]
	v_sub_f16_e64 v50, v149, v40
	v_sub_f16_e64 v52, v152, v147
	;; [unrolled: 1-line block ×4, first 2 shown]
	v_fma_f16 v166, v55, 2.0, -v173
	v_sub_f16_e32 v55, v39, v127
	v_sub_f16_e64 v56, v146, v129
	v_sub_f16_e64 v125, v150, v125
	;; [unrolled: 1-line block ×3, first 2 shown]
	v_fma_f16 v174, v49, 2.0, -v169
	v_fma_f16 v168, v54, 2.0, -v170
	;; [unrolled: 1-line block ×10, first 2 shown]
	v_add_f16_e32 v49, v40, v50
	v_fma_f16 v146, v151, 2.0, -v126
	v_sub_f16_e32 v51, v52, v51
	v_add_f16_e64 v148, v126, v55
	v_sub_f16_e64 v149, v56, v125
	v_pk_fma_f16 v43, v43, 2.0, v156 op_sel_hi:[1,0,1] neg_lo:[0,0,1] neg_hi:[0,0,1]
	v_pk_fma_f16 v47, v47, 2.0, v154 op_sel_hi:[1,0,1] neg_lo:[0,0,1] neg_hi:[0,0,1]
	v_sub_f16_e32 v38, v53, v38
	v_sub_f16_e32 v40, v54, v127
	v_fma_f16 v50, v50, 2.0, -v49
	v_fma_f16 v52, v52, 2.0, -v51
	v_sub_f16_e64 v130, v128, v130
	v_sub_f16_e64 v126, v129, v146
	v_fma_f16 v127, v55, 2.0, -v148
	v_fma_f16 v146, v56, 2.0, -v149
	v_pk_fma_f16 v45, v45, 2.0, v155 op_sel_hi:[1,0,1] neg_lo:[0,0,1] neg_hi:[0,0,1]
	v_pk_fma_f16 v41, v41, 2.0, v153 op_sel_hi:[1,0,1] neg_lo:[0,0,1] neg_hi:[0,0,1]
	v_pk_add_f16 v47, v43, v47 neg_lo:[0,1] neg_hi:[0,1]
	v_fma_f16 v39, v53, 2.0, -v38
	v_fma_f16 v53, v54, 2.0, -v40
	;; [unrolled: 1-line block ×4, first 2 shown]
	v_fmamk_f16 v56, v127, 0xb9a8, v50
	v_fma_f16 v125, 0xb9a8, v146, v52
	v_fma_f16 v128, 0x39a8, v149, v51
	v_sub_f16_e64 v129, v40, v130
	v_pk_add_f16 v130, v45, v41 neg_lo:[0,1] neg_hi:[0,1]
	v_lshrrev_b32_e32 v41, 16, v47
	v_fmac_f16_e64 v56, 0x39a8, v146
	v_fmac_f16_e32 v125, 0xb9a8, v127
	v_fma_f16 v127, 0x39a8, v148, v49
	v_fmac_f16_e64 v128, 0xb9a8, v148
	v_pk_fma_f16 v45, v45, 2.0, v130 op_sel_hi:[1,0,1] neg_lo:[0,0,1] neg_hi:[0,0,1]
	v_pk_fma_f16 v43, v43, 2.0, v47 op_sel_hi:[1,0,1] neg_lo:[0,0,1] neg_hi:[0,0,1]
	v_add_f16_e64 v148, v130, v41
	v_lshrrev_b32_e32 v146, 16, v130
	v_pk_fma_f16 v46, v46, 2.0, v157 op_sel_hi:[1,0,1] neg_lo:[0,0,1] neg_hi:[0,0,1]
	v_pk_fma_f16 v44, v44, 2.0, v161 op_sel_hi:[1,0,1] neg_lo:[0,0,1] neg_hi:[0,0,1]
	;; [unrolled: 1-line block ×4, first 2 shown]
	v_fmac_f16_e64 v127, 0x39a8, v149
	v_sub_f16_e64 v149, v146, v47
	v_pk_add_f16 v41, v45, v43 neg_lo:[0,1] neg_hi:[0,1]
	v_fma_f16 v43, v130, 2.0, -v148
	v_pk_add_f16 v130, v44, v48 neg_lo:[0,1] neg_hi:[0,1]
	v_pk_add_f16 v42, v46, v42 neg_lo:[0,1] neg_hi:[0,1]
	v_fma_f16 v47, v146, 2.0, -v149
	v_fmac_f16_e64 v176, 0xb9a8, v164
	v_fma_f16 v159, v159, 2.0, -v163
	v_lshrrev_b32_e32 v146, 16, v130
	v_lshrrev_b32_e32 v150, 16, v42
	v_pack_b32_f16 v47, v43, v47
	v_pk_fma_f16 v152, v46, 2.0, v42 op_sel_hi:[1,0,1] neg_lo:[0,0,1] neg_hi:[0,0,1]
	v_pk_fma_f16 v43, v44, 2.0, v130 op_sel_hi:[1,0,1] neg_lo:[0,0,1] neg_hi:[0,0,1]
	v_add_f16_e64 v154, v42, v146
	v_sub_f16_e64 v130, v150, v130
	v_fma_f16 v167, v167, 2.0, -v171
	v_fma_f16 v151, v160, 2.0, -v176
	v_pk_add_f16 v146, v152, v43 neg_lo:[0,1] neg_hi:[0,1]
	v_fma_f16 v155, v42, 2.0, -v154
	v_fma_f16 v156, v150, 2.0, -v130
	v_sub_f16_e32 v54, v39, v54
	v_sub_f16_e32 v55, v53, v55
	v_add_f16_e32 v126, v126, v38
	v_pk_fma_f16 v45, v45, 2.0, v41 op_sel_hi:[1,0,1] neg_lo:[0,0,1] neg_hi:[0,0,1]
	v_pack_b32_f16 v48, v174, v168
	v_pack_b32_f16 v46, v159, v172
	v_pack_b32_f16 v44, v169, v170
	v_pack_b32_f16 v43, v148, v149
	v_pack_b32_f16 v42, v163, v165
	v_pk_fma_f16 v150, v152, 2.0, v146 op_sel_hi:[1,0,1] neg_lo:[0,0,1] neg_hi:[0,0,1]
	v_pack_b32_f16 v153, v147, v151
	v_pack_b32_f16 v152, v155, v156
	;; [unrolled: 1-line block ×6, first 2 shown]
	global_wb scope:SCOPE_SE
	s_barrier_signal -1
	s_barrier_wait -1
	global_inv scope:SCOPE_SE
	ds_store_b128 v92, v[45:48]
	ds_store_b128 v92, v[41:44] offset:16
	ds_store_b128 v93, v[150:153]
	ds_store_b128 v93, v[146:149] offset:16
	s_and_saveexec_b32 s1, vcc_lo
	s_cbranch_execz .LBB0_19
; %bb.18:
	v_fma_f16 v41, v49, 2.0, -v127
	v_fma_f16 v42, v51, 2.0, -v128
	v_fma_f16 v38, v38, 2.0, -v126
	v_fma_f16 v40, v40, 2.0, -v129
	v_fma_f16 v43, v50, 2.0, -v56
	v_fma_f16 v44, v52, 2.0, -v125
	v_fma_f16 v45, v39, 2.0, -v54
	v_fma_f16 v46, v53, 2.0, -v55
	v_lshlrev_b32_e32 v47, 2, v145
	v_pack_b32_f16 v41, v41, v42
	v_pack_b32_f16 v40, v38, v40
	v_pack_b32_f16 v39, v43, v44
	v_pack_b32_f16 v38, v45, v46
	v_perm_b32 v45, v128, v127, 0x5040100
	v_perm_b32 v44, v129, v126, 0x5040100
	;; [unrolled: 1-line block ×4, first 2 shown]
	ds_store_b128 v47, v[38:41]
	ds_store_b128 v47, v[42:45] offset:16
.LBB0_19:
	s_wait_alu 0xfffe
	s_or_b32 exec_lo, exec_lo, s1
	v_add_nc_u32_e32 v38, 0x1200, v57
	v_add_nc_u32_e32 v39, 0x2480, v57
	global_wb scope:SCOPE_SE
	s_wait_dscnt 0x0
	s_barrier_signal -1
	s_barrier_wait -1
	global_inv scope:SCOPE_SE
	ds_load_2addr_b32 v[40:41], v57 offset1:224
	ds_load_2addr_b32 v[52:53], v38 offset0:24 offset1:248
	ds_load_2addr_b32 v[48:49], v39 offset0:16 offset1:240
	v_add_nc_u32_e32 v38, 0x3700, v57
	v_add_nc_u32_e32 v39, 0x700, v57
	;; [unrolled: 1-line block ×5, first 2 shown]
	ds_load_2addr_b32 v[50:51], v38 offset0:8 offset1:232
	ds_load_2addr_b32 v[38:39], v39 offset1:224
	ds_load_2addr_b32 v[46:47], v42 offset0:24 offset1:248
	ds_load_2addr_b32 v[44:45], v43 offset0:16 offset1:240
	ds_load_2addr_b32 v[42:43], v92 offset0:8 offset1:232
	ds_load_b32 v92, v57 offset:3584
	ds_load_b32 v145, v57 offset:8288
	;; [unrolled: 1-line block ×4, first 2 shown]
	s_and_saveexec_b32 s1, s0
	s_cbranch_execz .LBB0_21
; %bb.20:
	ds_load_b32 v54, v57 offset:4480
	ds_load_b32 v56, v57 offset:9184
	;; [unrolled: 1-line block ×4, first 2 shown]
	s_wait_dscnt 0x3
	v_lshrrev_b32_e32 v55, 16, v54
	s_wait_dscnt 0x2
	v_lshrrev_b32_e32 v125, 16, v56
	;; [unrolled: 2-line block ×4, first 2 shown]
.LBB0_21:
	s_wait_alu 0xfffe
	s_or_b32 exec_lo, exec_lo, s1
	s_wait_dscnt 0xa
	v_lshrrev_b32_e32 v147, 16, v52
	s_wait_dscnt 0x9
	v_lshrrev_b32_e32 v148, 16, v48
	;; [unrolled: 2-line block ×3, first 2 shown]
	v_lshrrev_b32_e32 v151, 16, v53
	v_mul_f16_e64 v165, v96, v52
	v_mul_f16_e64 v164, v96, v147
	v_mul_f16_e64 v166, v97, v148
	v_lshrrev_b32_e32 v152, 16, v49
	v_lshrrev_b32_e32 v153, 16, v51
	s_wait_dscnt 0x6
	v_lshrrev_b32_e32 v155, 16, v46
	v_fmac_f16_e64 v164, v12, v52
	v_fma_f16 v52, v12, v147, -v165
	v_fmac_f16_e64 v166, v13, v48
	v_mul_f16_e32 v48, v97, v48
	v_mul_f16_e64 v147, v95, v149
	v_mul_f16_e64 v165, v95, v50
	;; [unrolled: 1-line block ×4, first 2 shown]
	s_wait_dscnt 0x5
	v_lshrrev_b32_e32 v156, 16, v44
	s_wait_dscnt 0x4
	v_lshrrev_b32_e32 v157, 16, v42
	v_fma_f16 v48, v13, v148, -v48
	v_fmac_f16_e64 v147, v14, v50
	v_fma_f16 v50, v14, v149, -v165
	v_fmac_f16_e64 v169, v12, v53
	v_fma_f16 v53, v12, v151, -v170
	v_mul_f16_e64 v148, v97, v152
	v_mul_f16_e64 v149, v97, v49
	;; [unrolled: 1-line block ×5, first 2 shown]
	v_lshrrev_b32_e32 v159, 16, v47
	v_lshrrev_b32_e32 v160, 16, v45
	v_fmac_f16_e64 v148, v13, v49
	v_fma_f16 v49, v13, v152, -v149
	v_fmac_f16_e64 v151, v14, v51
	v_fma_f16 v51, v14, v153, -v165
	v_fmac_f16_e64 v170, v12, v46
	v_mul_f16_e32 v46, v96, v46
	v_mul_f16_e64 v149, v97, v156
	v_mul_f16_e64 v152, v97, v44
	;; [unrolled: 1-line block ×4, first 2 shown]
	v_lshrrev_b32_e32 v161, 16, v43
	s_wait_dscnt 0x2
	v_lshrrev_b32_e32 v163, 16, v145
	v_fma_f16 v46, v12, v155, -v46
	v_fmac_f16_e64 v149, v13, v44
	v_fma_f16 v44, v13, v156, -v152
	v_fmac_f16_e64 v153, v14, v42
	v_fma_f16 v42, v14, v157, -v165
	v_mul_f16_e64 v152, v96, v159
	v_mul_f16_e64 v155, v96, v47
	;; [unrolled: 1-line block ×4, first 2 shown]
	s_wait_dscnt 0x1
	v_lshrrev_b32_e32 v167, 16, v130
	v_mul_f16_e64 v165, v95, v161
	v_fmac_f16_e64 v152, v12, v47
	v_fma_f16 v47, v12, v159, -v155
	v_fmac_f16_e64 v156, v13, v45
	v_fma_f16 v45, v13, v160, -v157
	v_mul_f16_e64 v155, v96, v163
	v_mul_f16_e64 v157, v96, v145
	s_wait_dscnt 0x0
	v_lshrrev_b32_e32 v168, 16, v93
	v_fmac_f16_e64 v165, v14, v43
	v_mul_f16_e32 v43, v95, v43
	v_mul_f16_e64 v159, v97, v167
	v_mul_f16_e64 v160, v97, v130
	v_lshrrev_b32_e32 v146, 16, v40
	v_lshrrev_b32_e32 v150, 16, v41
	v_fmac_f16_e64 v155, v12, v145
	v_fma_f16 v145, v12, v163, -v157
	v_sub_f16_e64 v157, v40, v166
	v_sub_f16_e64 v147, v164, v147
	v_fma_f16 v43, v14, v161, -v43
	v_fmac_f16_e64 v159, v13, v130
	v_fma_f16 v130, v13, v167, -v160
	v_mul_f16_e64 v160, v95, v168
	v_mul_f16_e64 v161, v95, v93
	v_lshrrev_b32_e32 v154, 16, v38
	v_sub_f16_e64 v48, v146, v48
	v_sub_f16_e32 v50, v52, v50
	v_lshrrev_b32_e32 v158, 16, v39
	v_fma_f16 v40, v40, 2.0, -v157
	v_fma_f16 v163, v164, 2.0, -v147
	v_sub_f16_e64 v148, v41, v148
	v_sub_f16_e64 v49, v150, v49
	;; [unrolled: 1-line block ×3, first 2 shown]
	v_sub_f16_e32 v51, v53, v51
	v_lshrrev_b32_e32 v162, 16, v92
	v_fmac_f16_e64 v160, v14, v93
	v_fma_f16 v93, v14, v168, -v161
	v_sub_f16_e64 v149, v38, v149
	v_sub_f16_e64 v153, v170, v153
	;; [unrolled: 1-line block ×3, first 2 shown]
	v_sub_f16_e32 v42, v46, v42
	v_fma_f16 v146, v146, 2.0, -v48
	v_fma_f16 v52, v52, 2.0, -v50
	v_sub_f16_e64 v156, v39, v156
	v_sub_f16_e64 v165, v152, v165
	;; [unrolled: 1-line block ×3, first 2 shown]
	v_sub_f16_e32 v43, v47, v43
	v_sub_f16_e64 v161, v40, v163
	v_fma_f16 v41, v41, 2.0, -v148
	v_fma_f16 v150, v150, 2.0, -v49
	;; [unrolled: 1-line block ×4, first 2 shown]
	v_sub_f16_e64 v159, v92, v159
	v_sub_f16_e64 v130, v162, v130
	;; [unrolled: 1-line block ×4, first 2 shown]
	v_fma_f16 v38, v38, 2.0, -v149
	v_fma_f16 v164, v170, 2.0, -v153
	;; [unrolled: 1-line block ×4, first 2 shown]
	v_sub_f16_e64 v52, v146, v52
	v_add_f16_e64 v50, v157, v50
	v_sub_f16_e64 v147, v48, v147
	v_fma_f16 v39, v39, 2.0, -v156
	v_fma_f16 v152, v152, 2.0, -v165
	v_fma_f16 v158, v158, 2.0, -v45
	v_fma_f16 v47, v47, 2.0, -v43
	v_sub_f16_e64 v163, v41, v163
	v_sub_f16_e64 v53, v150, v53
	v_add_f16_e64 v51, v148, v51
	v_sub_f16_e64 v151, v49, v151
	v_fma_f16 v92, v92, 2.0, -v159
	v_fma_f16 v162, v162, 2.0, -v130
	v_fma_f16 v155, v155, 2.0, -v160
	v_fma_f16 v145, v145, 2.0, -v93
	v_sub_f16_e64 v164, v38, v164
	;; [unrolled: 8-line block ×4, first 2 shown]
	v_sub_f16_e64 v145, v162, v145
	v_add_f16_e64 v93, v159, v93
	v_sub_f16_e64 v160, v130, v160
	v_fma_f16 v38, v38, 2.0, -v164
	v_fma_f16 v154, v154, 2.0, -v46
	;; [unrolled: 1-line block ×4, first 2 shown]
	v_pack_b32_f16 v40, v40, v146
	v_pack_b32_f16 v48, v157, v48
	v_fma_f16 v39, v39, 2.0, -v152
	v_fma_f16 v158, v158, 2.0, -v47
	;; [unrolled: 1-line block ×4, first 2 shown]
	v_pack_b32_f16 v52, v161, v52
	v_pack_b32_f16 v50, v50, v147
	;; [unrolled: 1-line block ×4, first 2 shown]
	v_fma_f16 v92, v92, 2.0, -v155
	v_fma_f16 v162, v162, 2.0, -v145
	;; [unrolled: 1-line block ×4, first 2 shown]
	v_pack_b32_f16 v53, v163, v53
	v_pack_b32_f16 v51, v51, v151
	;; [unrolled: 1-line block ×4, first 2 shown]
	global_wb scope:SCOPE_SE
	s_barrier_signal -1
	s_barrier_wait -1
	global_inv scope:SCOPE_SE
	ds_store_2addr_b32 v102, v40, v48 offset1:8
	ds_store_2addr_b32 v102, v52, v50 offset0:16 offset1:24
	ds_store_2addr_b32 v101, v41, v49 offset1:8
	ds_store_2addr_b32 v101, v53, v51 offset0:16 offset1:24
	ds_store_2addr_b32 v98, v38, v44 offset1:8
	v_pack_b32_f16 v38, v164, v46
	v_pack_b32_f16 v40, v42, v153
	;; [unrolled: 1-line block ×10, first 2 shown]
	ds_store_2addr_b32 v98, v38, v40 offset0:16 offset1:24
	ds_store_2addr_b32 v99, v39, v41 offset1:8
	ds_store_2addr_b32 v99, v42, v43 offset0:16 offset1:24
	ds_store_2addr_b32 v100, v44, v45 offset1:8
	ds_store_2addr_b32 v100, v46, v47 offset0:16 offset1:24
	s_and_saveexec_b32 s1, s0
	s_cbranch_execz .LBB0_23
; %bb.22:
	v_mul_f16_e64 v38, v97, v129
	v_mul_f16_e32 v39, v96, v56
	v_mul_f16_e32 v40, v97, v126
	;; [unrolled: 1-line block ×3, first 2 shown]
	v_mul_f16_e64 v42, v95, v128
	v_mul_f16_e32 v43, v95, v127
	v_fmac_f16_e32 v38, v13, v126
	v_fma_f16 v39, v12, v125, -v39
	v_fmac_f16_e32 v41, v12, v56
	v_fmac_f16_e32 v42, v14, v127
	v_fma_f16 v12, v13, v129, -v40
	v_fma_f16 v13, v14, v128, -v43
	v_sub_f16_e32 v14, v54, v38
	v_and_or_b32 v43, 0x13e0, v94, v91
	v_sub_f16_e32 v38, v41, v42
	v_sub_f16_e32 v12, v55, v12
	;; [unrolled: 1-line block ×3, first 2 shown]
	v_fma_f16 v40, v54, 2.0, -v14
	v_lshlrev_b32_e32 v43, 2, v43
	v_fma_f16 v41, v41, 2.0, -v38
	v_fma_f16 v42, v55, 2.0, -v12
	;; [unrolled: 1-line block ×3, first 2 shown]
	v_add_f16_e32 v13, v14, v13
	v_sub_f16_e32 v38, v12, v38
	v_sub_f16_e32 v41, v40, v41
	s_delay_alu instid0(VALU_DEP_4) | instskip(NEXT) | instid1(VALU_DEP_4)
	v_sub_f16_e32 v39, v42, v39
	v_fma_f16 v14, v14, 2.0, -v13
	s_delay_alu instid0(VALU_DEP_4) | instskip(NEXT) | instid1(VALU_DEP_4)
	v_fma_f16 v12, v12, 2.0, -v38
	v_fma_f16 v40, v40, 2.0, -v41
	v_pack_b32_f16 v13, v13, v38
	v_fma_f16 v42, v42, 2.0, -v39
	s_delay_alu instid0(VALU_DEP_4) | instskip(SKIP_1) | instid1(VALU_DEP_3)
	v_pack_b32_f16 v12, v14, v12
	v_pack_b32_f16 v14, v41, v39
	;; [unrolled: 1-line block ×3, first 2 shown]
	ds_store_2addr_b32 v43, v40, v12 offset1:8
	ds_store_2addr_b32 v43, v14, v13 offset0:16 offset1:24
.LBB0_23:
	s_wait_alu 0xfffe
	s_or_b32 exec_lo, exec_lo, s1
	v_add_nc_u32_e32 v13, 0x700, v57
	global_wb scope:SCOPE_SE
	s_wait_dscnt 0x0
	s_barrier_signal -1
	s_barrier_wait -1
	global_inv scope:SCOPE_SE
	v_add_nc_u32_e32 v42, 0x1500, v57
	v_add_nc_u32_e32 v38, 0x1c00, v57
	ds_load_2addr_b32 v[46:47], v13 offset1:224
	v_add_nc_u32_e32 v12, 0x2a00, v57
	v_add_nc_u32_e32 v43, 0x3100, v57
	ds_load_2addr_b32 v[48:49], v42 offset1:224
	ds_load_2addr_b32 v[50:51], v38 offset1:224
	v_add_nc_u32_e32 v14, 0x3f00, v57
	ds_load_2addr_b32 v[52:53], v12 offset1:224
	ds_load_2addr_b32 v[54:55], v43 offset1:224
	v_add_nc_u32_e32 v39, 0xe00, v57
	v_add_nc_u32_e32 v40, 0x2300, v57
	ds_load_2addr_b32 v[91:92], v14 offset1:224
	v_add_nc_u32_e32 v41, 0x3800, v57
	ds_load_2addr_b32 v[44:45], v57 offset1:224
	ds_load_2addr_b32 v[93:94], v39 offset1:224
	;; [unrolled: 1-line block ×4, first 2 shown]
	ds_load_b32 v56, v57 offset:17920
	global_wb scope:SCOPE_SE
	s_wait_dscnt 0x0
	s_barrier_signal -1
	s_barrier_wait -1
	global_inv scope:SCOPE_SE
	s_mov_b32 s10, 0x899406f7
	v_lshrrev_b32_e32 v100, 16, v47
	v_lshrrev_b32_e32 v149, 16, v46
	s_mov_b32 s11, 0x3f2bdd2b
	v_lshrrev_b32_e32 v101, 16, v48
	v_lshrrev_b32_e32 v102, 16, v51
	v_mul_f16_e64 v152, v110, v100
	v_lshrrev_b32_e32 v125, 16, v52
	v_lshrrev_b32_e32 v126, 16, v55
	v_mul_f16_e64 v157, v109, v101
	v_mul_f16_e64 v158, v109, v48
	v_lshrrev_b32_e32 v127, 16, v91
	v_fmac_f16_e64 v152, v0, v47
	v_mul_f16_e32 v47, v110, v47
	v_mul_f16_e64 v159, v108, v102
	v_mul_f16_e64 v160, v108, v51
	v_lshrrev_b32_e32 v129, 16, v93
	v_lshrrev_b32_e32 v130, 16, v49
	v_fma_f16 v47, v0, v100, -v47
	v_fmac_f16_e64 v157, v1, v48
	v_fma_f16 v48, v1, v101, -v158
	v_fmac_f16_e64 v159, v2, v51
	v_fma_f16 v51, v2, v102, -v160
	v_mul_f16_e32 v100, v107, v125
	v_mul_f16_e32 v101, v107, v52
	;; [unrolled: 1-line block ×3, first 2 shown]
	v_mul_f16_e64 v158, v105, v55
	v_mul_f16_e64 v160, v104, v127
	v_lshrrev_b32_e32 v145, 16, v95
	v_lshrrev_b32_e32 v146, 16, v53
	v_fmac_f16_e32 v100, v3, v52
	v_fma_f16 v52, v3, v125, -v101
	v_fmac_f16_e32 v102, v18, v55
	v_fma_f16 v55, v18, v126, -v158
	v_fmac_f16_e64 v160, v19, v91
	v_mul_f16_e32 v91, v104, v91
	v_mul_f16_e64 v101, v110, v129
	v_mul_f16_e32 v125, v110, v93
	v_mul_f16_e64 v126, v109, v130
	v_mul_f16_e64 v158, v109, v49
	v_lshrrev_b32_e32 v148, 16, v92
	v_lshrrev_b32_e32 v150, 16, v94
	v_fma_f16 v91, v19, v127, -v91
	v_fmac_f16_e32 v101, v0, v93
	v_fma_f16 v93, v0, v129, -v125
	v_fmac_f16_e32 v126, v1, v49
	v_fma_f16 v49, v1, v130, -v158
	v_mul_f16_e64 v125, v108, v145
	v_mul_f16_e32 v127, v108, v95
	v_mul_f16_e64 v129, v107, v146
	v_mul_f16_e64 v130, v107, v53
	v_lshrrev_b32_e32 v147, 16, v97
	v_lshrrev_b32_e32 v151, 16, v50
	;; [unrolled: 1-line block ×4, first 2 shown]
	v_fmac_f16_e32 v125, v2, v95
	v_fma_f16 v95, v2, v145, -v127
	v_fmac_f16_e64 v129, v3, v53
	v_fma_f16 v53, v3, v146, -v130
	v_mul_f16_e64 v127, v104, v148
	v_mul_f16_e64 v130, v104, v92
	;; [unrolled: 1-line block ×3, first 2 shown]
	v_mul_f16_e32 v110, v110, v94
	v_lshrrev_b32_e32 v155, 16, v98
	v_lshrrev_b32_e32 v156, 16, v56
	v_mul_f16_e64 v158, v105, v147
	v_fmac_f16_e32 v127, v19, v92
	v_fma_f16 v92, v19, v148, -v130
	v_fmac_f16_e64 v145, v0, v94
	v_fma_f16 v0, v0, v150, -v110
	v_mul_f16_e64 v94, v109, v151
	v_mul_f16_e64 v110, v108, v153
	;; [unrolled: 1-line block ×3, first 2 shown]
	v_fmac_f16_e64 v158, v18, v97
	v_mul_f16_e32 v97, v105, v97
	v_mul_f16_e32 v109, v109, v50
	;; [unrolled: 1-line block ×3, first 2 shown]
	v_fmac_f16_e32 v94, v1, v50
	v_fmac_f16_e32 v110, v2, v96
	v_fmac_f16_e64 v130, v3, v54
	v_mul_f16_e32 v50, v107, v54
	v_mul_f16_e64 v54, v105, v155
	v_mul_f16_e32 v96, v105, v98
	v_mul_f16_e64 v105, v104, v156
	v_mul_f16_e32 v104, v104, v56
	v_fma_f16 v3, v3, v154, -v50
	v_fmac_f16_e32 v54, v18, v98
	v_add_f16_e64 v50, v152, v160
	v_fmac_f16_e32 v105, v19, v56
	v_add_f16_e32 v56, v47, v91
	v_sub_f16_e32 v47, v47, v91
	v_add_f16_e64 v91, v157, v102
	v_add_f16_e32 v98, v48, v55
	v_fma_f16 v97, v18, v147, -v97
	v_fma_f16 v18, v18, v155, -v96
	;; [unrolled: 1-line block ×3, first 2 shown]
	v_sub_f16_e64 v96, v152, v160
	v_sub_f16_e64 v102, v157, v102
	v_sub_f16_e32 v48, v48, v55
	v_add_f16_e64 v55, v159, v100
	v_add_f16_e32 v104, v51, v52
	v_sub_f16_e64 v100, v100, v159
	v_sub_f16_e32 v51, v52, v51
	v_add_f16_e32 v52, v91, v50
	v_add_f16_e32 v107, v98, v56
	v_lshrrev_b32_e32 v99, 16, v44
	v_fma_f16 v1, v1, v151, -v109
	v_fma_f16 v2, v2, v153, -v108
	v_sub_f16_e32 v108, v91, v50
	v_sub_f16_e32 v109, v98, v56
	;; [unrolled: 1-line block ×6, first 2 shown]
	v_add_f16_e64 v146, v100, v102
	v_add_f16_e64 v147, v51, v48
	v_sub_f16_e64 v148, v100, v102
	v_sub_f16_e64 v150, v51, v48
	v_sub_f16_e32 v102, v102, v96
	v_add_f16_e32 v52, v55, v52
	v_add_f16_e32 v55, v104, v107
	v_sub_f16_e32 v48, v48, v47
	v_sub_f16_e32 v100, v96, v100
	;; [unrolled: 1-line block ×3, first 2 shown]
	v_add_f16_e64 v96, v146, v96
	v_add_f16_e64 v47, v147, v47
	v_add_f16_e32 v44, v44, v52
	v_add_f16_e32 v99, v99, v55
	v_mul_f16_e32 v50, 0x3a52, v50
	v_mul_f16_e32 v56, 0x3a52, v56
	;; [unrolled: 1-line block ×4, first 2 shown]
	v_mul_f16_e64 v146, 0x3846, v148
	v_mul_f16_e64 v147, 0x3846, v150
	;; [unrolled: 1-line block ×4, first 2 shown]
	v_fmamk_f16 v52, v52, 0xbcab, v44
	v_fmamk_f16 v55, v55, 0xbcab, v99
	;; [unrolled: 1-line block ×4, first 2 shown]
	v_fma_f16 v104, v108, 0x39e0, -v104
	v_fma_f16 v107, v109, 0x39e0, -v107
	;; [unrolled: 1-line block ×4, first 2 shown]
	v_fma_f16 v108, 0xb574, v100, v146
	v_fma_f16 v109, 0xb574, v51, v147
	v_fma_f16 v48, v48, 0xbb00, -v147
	v_fma_f16 v100, v100, 0x3574, -v148
	;; [unrolled: 1-line block ×4, first 2 shown]
	v_add_f16_e32 v91, v91, v52
	v_add_f16_e32 v98, v98, v55
	;; [unrolled: 1-line block ×5, first 2 shown]
	v_fmac_f16_e32 v108, 0xb70e, v96
	v_fmac_f16_e32 v109, 0xb70e, v47
	;; [unrolled: 1-line block ×5, first 2 shown]
	v_add_f16_e32 v107, v107, v55
	v_fmac_f16_e32 v102, 0xb70e, v96
	v_add_f16_e32 v47, v109, v91
	v_sub_f16_e32 v55, v98, v108
	v_add_f16_e32 v56, v51, v50
	v_sub_f16_e32 v96, v52, v100
	v_sub_f16_e64 v146, v104, v48
	v_add_f16_e32 v48, v48, v104
	v_sub_f16_e32 v50, v50, v51
	v_add_f16_e32 v51, v100, v52
	v_sub_f16_e32 v52, v91, v109
	v_add_f16_e32 v91, v108, v98
	v_add_f16_e32 v98, v101, v127
	;; [unrolled: 1-line block ×3, first 2 shown]
	v_sub_f16_e32 v92, v93, v92
	v_add_f16_e64 v93, v126, v158
	v_add_f16_e32 v104, v49, v97
	v_add_f16_e64 v147, v102, v107
	v_sub_f16_e32 v102, v107, v102
	v_sub_f16_e32 v101, v101, v127
	v_sub_f16_e64 v107, v126, v158
	v_sub_f16_e32 v49, v49, v97
	v_add_f16_e64 v97, v125, v129
	v_add_f16_e32 v108, v95, v53
	v_sub_f16_e64 v109, v129, v125
	v_sub_f16_e32 v53, v53, v95
	v_add_f16_e32 v95, v93, v98
	v_add_f16_e32 v125, v104, v100
	v_lshrrev_b32_e32 v128, 16, v45
	v_sub_f16_e32 v126, v93, v98
	v_sub_f16_e32 v127, v104, v100
	;; [unrolled: 1-line block ×6, first 2 shown]
	v_add_f16_e64 v129, v109, v107
	v_add_f16_e64 v148, v53, v49
	v_sub_f16_e64 v150, v109, v107
	v_sub_f16_e64 v151, v53, v49
	v_sub_f16_e32 v107, v107, v101
	v_add_f16_e32 v95, v97, v95
	v_add_f16_e32 v97, v108, v125
	v_sub_f16_e32 v49, v49, v92
	v_sub_f16_e32 v109, v101, v109
	;; [unrolled: 1-line block ×3, first 2 shown]
	v_add_f16_e64 v101, v129, v101
	v_add_f16_e64 v92, v148, v92
	v_add_f16_e32 v45, v45, v95
	v_add_f16_e64 v108, v128, v97
	v_mul_f16_e32 v98, 0x3a52, v98
	v_mul_f16_e32 v100, 0x3a52, v100
	;; [unrolled: 1-line block ×3, first 2 shown]
	v_mul_f16_e64 v128, 0x2b26, v104
	v_mul_f16_e64 v129, 0x3846, v150
	v_mul_f16_e64 v148, 0x3846, v151
	v_mul_f16_e64 v150, 0xbb00, v107
	v_mul_f16_e64 v151, 0xbb00, v49
	v_fmamk_f16 v95, v95, 0xbcab, v45
	v_fmamk_f16 v97, v97, 0xbcab, v108
	;; [unrolled: 1-line block ×4, first 2 shown]
	v_fma_f16 v125, v126, 0x39e0, -v125
	v_fma_f16 v128, v127, 0x39e0, -v128
	;; [unrolled: 1-line block ×4, first 2 shown]
	v_fma_f16 v126, 0xb574, v109, v129
	v_fma_f16 v127, 0xb574, v53, v148
	v_fma_f16 v49, v49, 0xbb00, -v148
	v_fma_f16 v109, v109, 0x3574, -v150
	;; [unrolled: 1-line block ×4, first 2 shown]
	v_add_f16_e32 v93, v93, v95
	v_add_f16_e32 v104, v104, v97
	;; [unrolled: 1-line block ×3, first 2 shown]
	v_add_f16_e64 v128, v128, v97
	v_add_f16_e32 v95, v98, v95
	v_add_f16_e32 v97, v100, v97
	v_fmac_f16_e32 v126, 0xb70e, v101
	v_fmac_f16_e32 v53, 0xb70e, v92
	v_fmac_f16_e32 v109, 0xb70e, v101
	v_fmac_f16_e32 v49, 0xb70e, v92
	v_fmac_f16_e32 v107, 0xb70e, v101
	v_sub_f16_e32 v98, v104, v126
	v_add_f16_e32 v100, v53, v95
	v_sub_f16_e32 v101, v97, v109
	v_sub_f16_e64 v129, v125, v49
	v_add_f16_e32 v49, v49, v125
	v_sub_f16_e32 v53, v95, v53
	v_add_f16_e32 v95, v109, v97
	v_add_f16_e32 v97, v126, v104
	v_add_f16_e64 v104, v145, v105
	v_add_f16_e32 v109, v0, v19
	v_sub_f16_e32 v0, v0, v19
	v_add_f16_e32 v19, v94, v54
	v_add_f16_e32 v125, v1, v18
	v_fmac_f16_e32 v127, 0xb70e, v92
	v_sub_f16_e32 v54, v94, v54
	v_sub_f16_e32 v1, v1, v18
	v_add_f16_e64 v18, v110, v130
	v_add_f16_e32 v94, v2, v3
	v_sub_f16_e64 v110, v130, v110
	v_sub_f16_e32 v2, v3, v2
	v_add_f16_e32 v3, v19, v104
	v_add_f16_e32 v126, v125, v109
	v_sub_f16_e64 v105, v145, v105
	v_add_f16_e32 v92, v127, v93
	v_add_f16_e64 v148, v107, v128
	v_sub_f16_e64 v107, v128, v107
	v_sub_f16_e32 v93, v93, v127
	v_sub_f16_e32 v127, v19, v104
	v_sub_f16_e64 v128, v125, v109
	v_sub_f16_e32 v104, v104, v18
	v_sub_f16_e32 v109, v109, v94
	;; [unrolled: 1-line block ×4, first 2 shown]
	v_add_f16_e64 v130, v110, v54
	v_add_f16_e64 v145, v2, v1
	v_sub_f16_e64 v150, v110, v54
	v_sub_f16_e64 v151, v2, v1
	v_add_f16_e32 v3, v18, v3
	v_add_f16_e32 v18, v94, v126
	v_sub_f16_e32 v54, v54, v105
	v_sub_f16_e32 v1, v1, v0
	;; [unrolled: 1-line block ×4, first 2 shown]
	v_add_f16_e64 v94, v130, v105
	v_add_f16_e64 v0, v145, v0
	v_add_f16_e32 v46, v46, v3
	v_add_f16_e64 v105, v149, v18
	v_mul_f16_e32 v104, 0x3a52, v104
	v_mul_f16_e32 v109, 0x3a52, v109
	v_mul_f16_e32 v126, 0x2b26, v19
	v_mul_f16_e64 v130, 0x2b26, v125
	v_mul_f16_e64 v145, 0x3846, v150
	;; [unrolled: 1-line block ×5, first 2 shown]
	v_fmamk_f16 v3, v3, 0xbcab, v46
	v_fmamk_f16 v18, v18, 0xbcab, v105
	v_fmamk_f16 v19, v19, 0x2b26, v104
	v_fmamk_f16 v125, v125, 0x2b26, v109
	v_fma_f16 v126, v127, 0x39e0, -v126
	v_fma_f16 v130, v128, 0x39e0, -v130
	;; [unrolled: 1-line block ×4, first 2 shown]
	v_fma_f16 v127, 0xb574, v110, v145
	v_fma_f16 v128, 0xb574, v2, v149
	v_fma_f16 v54, v54, 0xbb00, -v145
	v_fma_f16 v1, v1, 0xbb00, -v149
	;; [unrolled: 1-line block ×4, first 2 shown]
	v_pack_b32_f16 v44, v44, v99
	v_pack_b32_f16 v47, v47, v55
	v_add_f16_e32 v19, v19, v3
	v_add_f16_e32 v125, v125, v18
	v_fmac_f16_e32 v127, 0xb70e, v94
	v_fmac_f16_e64 v128, 0xb70e, v0
	v_pack_b32_f16 v55, v56, v96
	v_pack_b32_f16 v56, v146, v147
	v_add_f16_e32 v126, v126, v3
	v_add_f16_e64 v130, v130, v18
	v_add_f16_e32 v3, v104, v3
	v_add_f16_e32 v18, v109, v18
	v_fmac_f16_e32 v54, 0xb70e, v94
	v_fmac_f16_e32 v2, 0xb70e, v0
	;; [unrolled: 1-line block ×4, first 2 shown]
	ds_store_2addr_b32 v103, v44, v47 offset1:32
	ds_store_2addr_b32 v103, v55, v56 offset0:64 offset1:96
	v_pack_b32_f16 v44, v48, v102
	v_pack_b32_f16 v47, v50, v51
	v_add_f16_e64 v0, v128, v19
	v_sub_f16_e32 v94, v125, v127
	v_pack_b32_f16 v48, v52, v91
	v_add_f16_e32 v104, v2, v3
	v_sub_f16_e32 v109, v18, v110
	v_sub_f16_e64 v145, v126, v1
	v_add_f16_e64 v149, v54, v130
	v_pack_b32_f16 v45, v45, v108
	v_pack_b32_f16 v50, v92, v98
	v_add_f16_e32 v1, v1, v126
	v_sub_f16_e64 v54, v130, v54
	v_sub_f16_e32 v2, v3, v2
	v_add_f16_e32 v3, v110, v18
	v_pack_b32_f16 v51, v100, v101
	v_pack_b32_f16 v52, v129, v148
	v_sub_f16_e64 v18, v19, v128
	v_add_f16_e32 v19, v127, v125
	v_pack_b32_f16 v49, v49, v107
	v_pack_b32_f16 v53, v53, v95
	ds_store_2addr_b32 v103, v44, v47 offset0:128 offset1:160
	ds_store_b32 v103, v48 offset:768
	ds_store_2addr_b32 v106, v45, v50 offset1:32
	ds_store_2addr_b32 v106, v51, v52 offset0:64 offset1:96
	ds_store_2addr_b32 v106, v49, v53 offset0:128 offset1:160
	v_pack_b32_f16 v44, v93, v97
	v_pack_b32_f16 v45, v46, v105
	;; [unrolled: 1-line block ×8, first 2 shown]
	ds_store_b32 v106, v44 offset:768
	ds_store_2addr_b32 v123, v45, v0 offset1:32
	ds_store_2addr_b32 v123, v46, v47 offset0:64 offset1:96
	ds_store_2addr_b32 v123, v1, v2 offset0:128 offset1:160
	ds_store_b32 v123, v3 offset:768
	global_wb scope:SCOPE_SE
	s_wait_dscnt 0x0
	s_barrier_signal -1
	s_barrier_wait -1
	global_inv scope:SCOPE_SE
	ds_load_2addr_b32 v[0:1], v57 offset1:224
	ds_load_2addr_b32 v[2:3], v13 offset1:224
	;; [unrolled: 1-line block ×10, first 2 shown]
	ds_load_b32 v94, v57 offset:17920
	global_wb scope:SCOPE_SE
	s_wait_dscnt 0x0
	s_barrier_signal -1
	s_barrier_wait -1
	global_inv scope:SCOPE_SE
	v_lshrrev_b32_e32 v56, 16, v0
	v_lshrrev_b32_e32 v93, 16, v3
	;; [unrolled: 1-line block ×6, first 2 shown]
	v_mul_f16_e32 v110, v122, v93
	v_lshrrev_b32_e32 v99, 16, v50
	v_mul_f16_e64 v128, v121, v95
	v_mul_f16_e64 v129, v121, v18
	;; [unrolled: 1-line block ×3, first 2 shown]
	v_fmac_f16_e32 v110, v8, v3
	v_mul_f16_e32 v3, v122, v3
	v_mul_f16_e64 v145, v120, v45
	v_lshrrev_b32_e32 v101, 16, v52
	v_lshrrev_b32_e32 v102, 16, v19
	v_fmac_f16_e64 v128, v9, v18
	v_fma_f16 v3, v8, v93, -v3
	v_fma_f16 v18, v9, v95, -v129
	v_fmac_f16_e64 v130, v10, v45
	v_fma_f16 v45, v10, v96, -v145
	v_mul_f16_e32 v93, v119, v97
	v_mul_f16_e32 v95, v119, v46
	;; [unrolled: 1-line block ×3, first 2 shown]
	v_mul_f16_e64 v129, v118, v49
	v_mul_f16_e64 v145, v117, v99
	v_lshrrev_b32_e32 v103, 16, v54
	v_lshrrev_b32_e32 v104, 16, v47
	;; [unrolled: 1-line block ×3, first 2 shown]
	v_fmac_f16_e32 v93, v11, v46
	v_fma_f16 v46, v11, v97, -v95
	v_fmac_f16_e32 v96, v22, v49
	v_fma_f16 v49, v22, v98, -v129
	v_fmac_f16_e64 v145, v23, v50
	v_mul_f16_e32 v50, v117, v50
	v_mul_f16_e32 v95, v122, v101
	;; [unrolled: 1-line block ×4, first 2 shown]
	v_lshrrev_b32_e32 v106, 16, v51
	v_lshrrev_b32_e32 v108, 16, v53
	v_mul_f16_e32 v121, v121, v19
	v_fma_f16 v50, v23, v99, -v50
	v_fmac_f16_e32 v95, v8, v52
	v_fma_f16 v8, v8, v101, -v97
	v_fmac_f16_e32 v98, v9, v19
	v_mul_f16_e32 v19, v120, v103
	v_mul_f16_e32 v52, v120, v54
	v_mul_f16_e32 v97, v119, v104
	v_mul_f16_e32 v99, v119, v47
	v_mul_f16_e32 v101, v118, v105
	v_lshrrev_b32_e32 v109, 16, v44
	v_lshrrev_b32_e32 v125, 16, v48
	v_fmac_f16_e32 v19, v10, v54
	v_fma_f16 v10, v10, v103, -v52
	v_fmac_f16_e32 v97, v11, v47
	v_fma_f16 v11, v11, v104, -v99
	v_fmac_f16_e32 v101, v22, v91
	v_mul_f16_e32 v47, v118, v91
	v_mul_f16_e32 v52, v117, v106
	;; [unrolled: 1-line block ×4, first 2 shown]
	v_lshrrev_b32_e32 v123, 16, v55
	v_lshrrev_b32_e32 v126, 16, v92
	v_mul_f16_e32 v54, v117, v51
	v_fma_f16 v22, v22, v105, -v47
	v_fmac_f16_e32 v52, v23, v51
	v_fmac_f16_e32 v91, v4, v53
	v_fma_f16 v4, v4, v108, -v99
	v_mul_f16_e32 v47, v115, v109
	v_mul_f16_e32 v51, v115, v44
	v_mul_f16_e32 v99, v113, v125
	v_lshrrev_b32_e32 v127, 16, v94
	v_fma_f16 v23, v23, v106, -v54
	v_mul_f16_e32 v53, v114, v123
	v_mul_f16_e32 v54, v114, v55
	v_fmac_f16_e32 v47, v5, v44
	v_fma_f16 v5, v5, v109, -v51
	v_fmac_f16_e32 v99, v7, v48
	v_mul_f16_e32 v44, v113, v48
	v_mul_f16_e32 v48, v112, v126
	;; [unrolled: 1-line block ×3, first 2 shown]
	v_fmac_f16_e32 v53, v6, v55
	v_fma_f16 v6, v6, v123, -v54
	v_mul_f16_e32 v54, v111, v127
	v_mul_f16_e32 v55, v111, v94
	v_fma_f16 v7, v7, v125, -v44
	v_fmac_f16_e32 v48, v20, v92
	v_fma_f16 v20, v20, v126, -v51
	v_add_f16_e64 v44, v110, v145
	v_add_f16_e32 v51, v3, v50
	v_sub_f16_e32 v3, v3, v50
	v_add_f16_e64 v50, v128, v96
	v_add_f16_e32 v92, v18, v49
	v_fma_f16 v9, v9, v102, -v121
	v_fmac_f16_e32 v54, v21, v94
	v_fma_f16 v21, v21, v127, -v55
	v_sub_f16_e64 v55, v110, v145
	v_sub_f16_e64 v94, v128, v96
	v_sub_f16_e32 v18, v18, v49
	v_add_f16_e64 v49, v130, v93
	v_add_f16_e32 v96, v45, v46
	v_sub_f16_e64 v93, v93, v130
	v_sub_f16_e32 v45, v46, v45
	v_add_f16_e32 v46, v50, v44
	v_add_f16_e32 v102, v92, v51
	v_sub_f16_e32 v103, v50, v44
	v_sub_f16_e32 v104, v92, v51
	;; [unrolled: 1-line block ×6, first 2 shown]
	v_add_f16_e32 v105, v93, v94
	v_add_f16_e32 v106, v45, v18
	v_sub_f16_e32 v108, v93, v94
	v_sub_f16_e32 v109, v45, v18
	;; [unrolled: 1-line block ×3, first 2 shown]
	v_add_f16_e32 v46, v49, v46
	v_add_f16_e32 v49, v96, v102
	v_sub_f16_e32 v18, v18, v3
	v_sub_f16_e32 v93, v55, v93
	;; [unrolled: 1-line block ×3, first 2 shown]
	v_add_f16_e32 v55, v105, v55
	v_add_f16_e32 v3, v106, v3
	;; [unrolled: 1-line block ×4, first 2 shown]
	v_mul_f16_e32 v44, 0x3a52, v44
	v_mul_f16_e32 v51, 0x3a52, v51
	;; [unrolled: 1-line block ×8, first 2 shown]
	v_fmamk_f16 v46, v46, 0xbcab, v0
	v_fmamk_f16 v49, v49, 0xbcab, v56
	;; [unrolled: 1-line block ×4, first 2 shown]
	v_fma_f16 v96, v103, 0x39e0, -v96
	v_fma_f16 v102, v104, 0x39e0, -v102
	;; [unrolled: 1-line block ×4, first 2 shown]
	v_fmamk_f16 v103, v93, 0xb574, v105
	v_fmamk_f16 v104, v45, 0xb574, v106
	v_fma_f16 v93, v93, 0x3574, -v108
	v_fma_f16 v45, v45, 0x3574, -v109
	v_fma_f16 v94, v94, 0xbb00, -v105
	v_fma_f16 v18, v18, 0xbb00, -v106
	v_add_f16_e32 v50, v50, v46
	v_add_f16_e32 v92, v92, v49
	;; [unrolled: 1-line block ×5, first 2 shown]
	v_fmac_f16_e32 v103, 0xb70e, v55
	v_fmac_f16_e32 v104, 0xb70e, v3
	v_fmac_f16_e32 v45, 0xb70e, v3
	v_fmac_f16_e32 v93, 0xb70e, v55
	v_add_f16_e32 v102, v102, v49
	v_fmac_f16_e32 v94, 0xb70e, v55
	v_fmac_f16_e32 v18, 0xb70e, v3
	v_add_f16_e32 v3, v104, v50
	v_sub_f16_e32 v49, v92, v103
	v_add_f16_e32 v51, v45, v44
	v_sub_f16_e32 v55, v46, v93
	v_sub_f16_e32 v44, v44, v45
	v_add_f16_e32 v45, v93, v46
	v_sub_f16_e32 v46, v50, v104
	v_add_f16_e32 v50, v103, v92
	v_add_f16_e32 v92, v95, v52
	;; [unrolled: 1-line block ×3, first 2 shown]
	v_sub_f16_e32 v52, v95, v52
	v_sub_f16_e32 v8, v8, v23
	v_add_f16_e32 v23, v98, v101
	v_add_f16_e32 v95, v9, v22
	v_sub_f16_e32 v105, v96, v18
	v_add_f16_e32 v18, v18, v96
	v_sub_f16_e32 v96, v98, v101
	v_sub_f16_e32 v9, v9, v22
	v_add_f16_e32 v22, v19, v97
	v_add_f16_e32 v98, v10, v11
	v_sub_f16_e32 v19, v97, v19
	v_sub_f16_e32 v10, v11, v10
	v_add_f16_e32 v11, v23, v92
	v_add_f16_e32 v97, v95, v93
	v_lshrrev_b32_e32 v100, 16, v1
	v_add_f16_e32 v106, v94, v102
	v_sub_f16_e32 v94, v102, v94
	v_sub_f16_e32 v101, v23, v92
	;; [unrolled: 1-line block ×7, first 2 shown]
	v_add_f16_e32 v103, v19, v96
	v_add_f16_e32 v104, v10, v9
	v_sub_f16_e32 v108, v19, v96
	v_sub_f16_e32 v109, v10, v9
	;; [unrolled: 1-line block ×3, first 2 shown]
	v_add_f16_e32 v11, v22, v11
	v_add_f16_e32 v22, v98, v97
	v_sub_f16_e32 v9, v9, v8
	v_sub_f16_e32 v19, v52, v19
	;; [unrolled: 1-line block ×3, first 2 shown]
	v_add_f16_e32 v52, v103, v52
	v_add_f16_e32 v8, v104, v8
	;; [unrolled: 1-line block ×4, first 2 shown]
	v_mul_f16_e32 v92, 0x3a52, v92
	v_mul_f16_e32 v93, 0x3a52, v93
	;; [unrolled: 1-line block ×8, first 2 shown]
	v_fmamk_f16 v11, v11, 0xbcab, v1
	v_fmamk_f16 v22, v22, 0xbcab, v97
	;; [unrolled: 1-line block ×4, first 2 shown]
	v_fma_f16 v98, v101, 0x39e0, -v98
	v_fma_f16 v100, v102, 0x39e0, -v100
	;; [unrolled: 1-line block ×4, first 2 shown]
	v_fmamk_f16 v101, v19, 0xb574, v103
	v_fmamk_f16 v102, v10, 0xb574, v104
	v_fma_f16 v19, v19, 0x3574, -v108
	v_fma_f16 v10, v10, 0x3574, -v109
	;; [unrolled: 1-line block ×4, first 2 shown]
	v_add_f16_e32 v23, v23, v11
	v_add_f16_e32 v95, v95, v22
	;; [unrolled: 1-line block ×6, first 2 shown]
	v_fmac_f16_e32 v101, 0xb70e, v52
	v_fmac_f16_e32 v102, 0xb70e, v8
	;; [unrolled: 1-line block ×6, first 2 shown]
	v_add_f16_e32 v8, v102, v23
	v_sub_f16_e32 v52, v95, v101
	v_add_f16_e32 v92, v10, v11
	v_sub_f16_e32 v93, v22, v19
	v_sub_f16_e32 v10, v11, v10
	v_add_f16_e32 v11, v19, v22
	v_sub_f16_e32 v19, v23, v102
	v_add_f16_e32 v22, v101, v95
	v_add_f16_e32 v23, v91, v54
	;; [unrolled: 1-line block ×3, first 2 shown]
	v_sub_f16_e32 v54, v91, v54
	v_sub_f16_e32 v4, v4, v21
	v_add_f16_e32 v21, v47, v48
	v_add_f16_e32 v91, v5, v20
	v_sub_f16_e32 v103, v98, v9
	v_add_f16_e32 v9, v9, v98
	v_sub_f16_e32 v47, v47, v48
	v_sub_f16_e32 v5, v5, v20
	v_add_f16_e32 v20, v53, v99
	v_add_f16_e32 v48, v6, v7
	v_sub_f16_e32 v53, v99, v53
	v_sub_f16_e32 v6, v7, v6
	v_add_f16_e32 v7, v21, v23
	v_add_f16_e32 v98, v91, v95
	v_lshrrev_b32_e32 v107, 16, v2
	v_add_f16_e32 v104, v96, v100
	v_sub_f16_e32 v96, v100, v96
	v_sub_f16_e32 v99, v21, v23
	;; [unrolled: 1-line block ×7, first 2 shown]
	v_add_f16_e32 v101, v53, v47
	v_add_f16_e32 v102, v6, v5
	v_sub_f16_e32 v108, v53, v47
	v_sub_f16_e32 v109, v6, v5
	v_add_f16_e32 v7, v20, v7
	v_add_f16_e32 v20, v48, v98
	v_sub_f16_e32 v47, v47, v54
	v_sub_f16_e32 v5, v5, v4
	;; [unrolled: 1-line block ×4, first 2 shown]
	v_add_f16_e32 v48, v101, v54
	v_add_f16_e32 v4, v102, v4
	;; [unrolled: 1-line block ×4, first 2 shown]
	v_mul_f16_e32 v23, 0x3a52, v23
	v_mul_f16_e32 v95, 0x3a52, v95
	;; [unrolled: 1-line block ×8, first 2 shown]
	v_fmamk_f16 v7, v7, 0xbcab, v2
	v_fmamk_f16 v20, v20, 0xbcab, v54
	;; [unrolled: 1-line block ×4, first 2 shown]
	v_fma_f16 v98, v99, 0x39e0, -v98
	v_fma_f16 v101, v100, 0x39e0, -v101
	;; [unrolled: 1-line block ×4, first 2 shown]
	v_fmamk_f16 v99, v53, 0xb574, v102
	v_fmamk_f16 v100, v6, 0xb574, v107
	v_fma_f16 v47, v47, 0xbb00, -v102
	v_fma_f16 v5, v5, 0xbb00, -v107
	;; [unrolled: 1-line block ×4, first 2 shown]
	v_pack_b32_f16 v0, v0, v56
	v_pack_b32_f16 v3, v3, v49
	v_add_f16_e32 v21, v21, v7
	v_add_f16_e32 v91, v91, v20
	v_fmac_f16_e32 v99, 0xb70e, v48
	v_fmac_f16_e32 v100, 0xb70e, v4
	v_add_f16_e32 v98, v98, v7
	v_add_f16_e32 v101, v101, v20
	;; [unrolled: 1-line block ×4, first 2 shown]
	v_fmac_f16_e32 v47, 0xb70e, v48
	v_fmac_f16_e32 v6, 0xb70e, v4
	;; [unrolled: 1-line block ×4, first 2 shown]
	ds_store_2addr_b32 v57, v0, v3 offset1:224
	v_pack_b32_f16 v0, v51, v55
	v_pack_b32_f16 v3, v105, v106
	v_add_f16_e32 v4, v100, v21
	v_sub_f16_e32 v23, v91, v99
	v_pack_b32_f16 v18, v18, v94
	v_pack_b32_f16 v44, v44, v45
	v_add_f16_e32 v48, v6, v7
	v_sub_f16_e32 v95, v20, v53
	v_sub_f16_e32 v102, v98, v5
	v_add_f16_e32 v107, v47, v101
	v_pack_b32_f16 v45, v46, v50
	v_pack_b32_f16 v1, v1, v97
	v_add_f16_e32 v5, v5, v98
	v_sub_f16_e32 v47, v101, v47
	v_sub_f16_e32 v6, v7, v6
	v_add_f16_e32 v7, v53, v20
	v_pack_b32_f16 v8, v8, v52
	v_pack_b32_f16 v46, v92, v93
	v_sub_f16_e32 v20, v21, v100
	v_add_f16_e32 v21, v99, v91
	v_pack_b32_f16 v49, v103, v104
	v_pack_b32_f16 v9, v9, v96
	ds_store_2addr_b32 v13, v0, v3 offset1:224
	ds_store_2addr_b32 v39, v18, v44 offset1:224
	;; [unrolled: 1-line block ×5, first 2 shown]
	v_pack_b32_f16 v0, v10, v11
	v_pack_b32_f16 v1, v19, v22
	;; [unrolled: 1-line block ×4, first 2 shown]
	v_add_nc_u32_e32 v4, 0x3100, v124
	v_pack_b32_f16 v8, v48, v95
	v_pack_b32_f16 v9, v102, v107
	v_add_nc_u32_e32 v10, 0x3800, v124
	v_pack_b32_f16 v5, v5, v47
	v_pack_b32_f16 v6, v6, v7
	v_add_nc_u32_e32 v7, 0x3f00, v124
	v_pack_b32_f16 v11, v20, v21
	ds_store_2addr_b32 v12, v0, v1 offset1:224
	ds_store_2addr_b32 v4, v2, v3 offset1:224
	;; [unrolled: 1-line block ×4, first 2 shown]
	ds_store_b32 v124, v11 offset:17920
	global_wb scope:SCOPE_SE
	s_wait_dscnt 0x0
	s_barrier_signal -1
	s_barrier_wait -1
	global_inv scope:SCOPE_SE
	ds_load_2addr_b32 v[0:1], v57 offset1:224
	ds_load_2addr_b32 v[2:3], v42 offset1:224
	;; [unrolled: 1-line block ×10, first 2 shown]
	ds_load_b32 v47, v57 offset:17920
	s_wait_dscnt 0xa
	v_lshrrev_b32_e32 v44, 16, v0
	s_wait_dscnt 0x9
	v_lshrrev_b32_e32 v45, 16, v3
	s_wait_dscnt 0x8
	v_lshrrev_b32_e32 v46, 16, v4
	s_wait_dscnt 0x7
	v_lshrrev_b32_e32 v49, 16, v6
	v_mul_f16_e64 v100, v144, v3
	v_lshrrev_b32_e32 v50, 16, v5
	v_mul_f16_e64 v98, v144, v45
	v_mul_f16_e64 v102, v143, v46
	v_lshrrev_b32_e32 v52, 16, v7
	s_wait_dscnt 0x5
	v_lshrrev_b32_e32 v53, 16, v10
	s_wait_dscnt 0x4
	v_lshrrev_b32_e32 v55, 16, v18
	v_fmac_f16_e32 v98, v28, v3
	v_mul_f16_e64 v3, v143, v4
	v_fma_f16 v28, v28, v45, -v100
	v_mul_f16_e64 v45, v142, v49
	v_fmac_f16_e32 v102, v29, v4
	v_mul_f16_e64 v4, v142, v6
	v_fma_f16 v3, v29, v46, -v3
	v_mul_f16_e64 v29, v141, v50
	;; [unrolled: 4-line block ×4, first 2 shown]
	v_lshrrev_b32_e32 v56, 16, v11
	v_lshrrev_b32_e32 v92, 16, v19
	v_fmac_f16_e32 v30, v32, v7
	v_mul_f16_e64 v7, v139, v10
	v_fma_f16 v5, v32, v52, -v5
	v_mul_f16_e64 v32, v138, v55
	v_fmac_f16_e32 v31, v33, v10
	v_mul_f16_e64 v10, v138, v18
	s_wait_dscnt 0x2
	v_lshrrev_b32_e32 v93, 16, v22
	v_fma_f16 v7, v33, v53, -v7
	v_mul_f16_e64 v33, v137, v56
	v_fmac_f16_e32 v32, v34, v18
	v_mul_f16_e64 v18, v137, v11
	v_fma_f16 v10, v34, v55, -v10
	v_mul_f16_e64 v34, v136, v92
	s_wait_dscnt 0x1
	v_lshrrev_b32_e32 v95, 16, v42
	v_lshrrev_b32_e32 v96, 16, v23
	v_fmac_f16_e32 v33, v35, v11
	v_mul_f16_e64 v11, v136, v19
	v_fma_f16 v18, v35, v56, -v18
	v_mul_f16_e64 v35, v135, v93
	v_fmac_f16_e32 v34, v36, v19
	v_mul_f16_e64 v19, v135, v22
	v_lshrrev_b32_e32 v99, 16, v43
	v_fma_f16 v11, v36, v92, -v11
	v_mul_f16_e64 v36, v134, v95
	v_fmac_f16_e32 v35, v37, v22
	v_mul_f16_e64 v22, v134, v42
	v_fma_f16 v19, v37, v93, -v19
	v_mul_f16_e64 v37, v133, v96
	s_wait_dscnt 0x0
	v_lshrrev_b32_e32 v101, 16, v47
	v_fmac_f16_e32 v36, v26, v42
	v_mul_f16_e64 v42, v133, v23
	v_fma_f16 v22, v26, v95, -v22
	v_mul_f16_e64 v26, v132, v99
	v_fmac_f16_e32 v37, v27, v23
	v_mul_f16_e64 v23, v132, v43
	v_fma_f16 v27, v27, v96, -v42
	v_mul_f16_e64 v42, v131, v101
	v_fmac_f16_e32 v26, v24, v43
	v_mul_f16_e64 v43, v131, v47
	v_fma_f16 v23, v24, v99, -v23
	v_add_f16_e32 v24, v98, v102
	v_fmac_f16_e32 v42, v25, v47
	v_add_f16_e32 v46, v0, v98
	v_fma_f16 v25, v25, v101, -v43
	v_add_f16_e32 v43, v28, v3
	v_fma_f16 v0, -0.5, v24, v0
	v_sub_f16_e32 v24, v28, v3
	v_lshrrev_b32_e32 v48, 16, v1
	v_add_f16_e32 v28, v44, v28
	v_fmac_f16_e32 v44, -0.5, v43
	v_sub_f16_e32 v43, v98, v102
	v_fmamk_f16 v47, v24, 0xbaee, v0
	v_fmac_f16_e32 v0, 0x3aee, v24
	v_add_f16_e32 v24, v45, v29
	v_add_f16_e32 v3, v28, v3
	v_fmamk_f16 v28, v43, 0x3aee, v44
	v_add_f16_e32 v49, v1, v45
	v_fmac_f16_e32 v44, 0xbaee, v43
	v_add_f16_e32 v43, v4, v6
	v_fmac_f16_e32 v1, -0.5, v24
	v_sub_f16_e32 v24, v4, v6
	v_add_f16_e32 v4, v48, v4
	v_lshrrev_b32_e32 v51, 16, v8
	v_add_f16_e32 v49, v49, v29
	v_fmac_f16_e32 v48, -0.5, v43
	v_sub_f16_e32 v29, v45, v29
	v_add_f16_e32 v4, v4, v6
	v_add_f16_e32 v6, v30, v31
	v_fmamk_f16 v43, v24, 0xbaee, v1
	v_fmac_f16_e32 v1, 0x3aee, v24
	v_fmamk_f16 v24, v29, 0x3aee, v48
	v_add_f16_e32 v45, v8, v30
	v_fmac_f16_e32 v48, 0xbaee, v29
	v_add_f16_e32 v29, v5, v7
	v_fma_f16 v6, -0.5, v6, v8
	v_sub_f16_e32 v8, v5, v7
	v_add_f16_e32 v5, v51, v5
	v_lshrrev_b32_e32 v54, 16, v9
	v_fmac_f16_e32 v51, -0.5, v29
	v_sub_f16_e32 v29, v30, v31
	v_add_f16_e32 v45, v45, v31
	v_add_f16_e32 v5, v5, v7
	;; [unrolled: 1-line block ×3, first 2 shown]
	v_fmamk_f16 v30, v8, 0xbaee, v6
	v_fmac_f16_e32 v6, 0x3aee, v8
	v_fmamk_f16 v8, v29, 0x3aee, v51
	v_add_f16_e32 v31, v9, v32
	v_fmac_f16_e32 v51, 0xbaee, v29
	v_add_f16_e32 v29, v10, v18
	v_fmac_f16_e32 v9, -0.5, v7
	v_sub_f16_e32 v7, v10, v18
	v_add_f16_e32 v10, v54, v10
	v_lshrrev_b32_e32 v91, 16, v20
	v_fmac_f16_e32 v54, -0.5, v29
	v_sub_f16_e32 v29, v32, v33
	v_fmamk_f16 v32, v7, 0xbaee, v9
	v_fmac_f16_e32 v9, 0x3aee, v7
	v_add_f16_e32 v7, v10, v18
	v_add_f16_e32 v10, v34, v35
	;; [unrolled: 1-line block ×3, first 2 shown]
	v_fmamk_f16 v18, v29, 0x3aee, v54
	v_add_f16_e32 v33, v20, v34
	v_fmac_f16_e32 v54, 0xbaee, v29
	v_add_f16_e32 v29, v11, v19
	v_fma_f16 v10, -0.5, v10, v20
	v_sub_f16_e32 v20, v11, v19
	v_add_f16_e32 v11, v91, v11
	v_lshrrev_b32_e32 v94, 16, v21
	v_fmac_f16_e32 v91, -0.5, v29
	v_sub_f16_e32 v29, v34, v35
	v_add_f16_e32 v33, v33, v35
	v_add_f16_e32 v11, v11, v19
	v_add_f16_e32 v19, v36, v37
	v_fmamk_f16 v34, v20, 0xbaee, v10
	v_fmac_f16_e32 v10, 0x3aee, v20
	v_fmamk_f16 v20, v29, 0x3aee, v91
	v_add_f16_e32 v35, v21, v36
	v_fmac_f16_e32 v91, 0xbaee, v29
	v_add_f16_e32 v29, v22, v27
	v_fmac_f16_e32 v21, -0.5, v19
	v_sub_f16_e32 v19, v22, v27
	v_add_f16_e32 v22, v94, v22
	v_lshrrev_b32_e32 v97, 16, v2
	v_fmac_f16_e32 v94, -0.5, v29
	v_sub_f16_e32 v29, v36, v37
	v_fmamk_f16 v36, v19, 0xbaee, v21
	v_fmac_f16_e32 v21, 0x3aee, v19
	v_add_f16_e32 v19, v22, v27
	v_add_f16_e32 v22, v26, v42
	;; [unrolled: 1-line block ×3, first 2 shown]
	v_fmamk_f16 v27, v29, 0x3aee, v94
	v_fmac_f16_e32 v94, 0xbaee, v29
	v_add_f16_e32 v29, v23, v25
	v_add_f16_e32 v37, v2, v26
	v_fmac_f16_e32 v2, -0.5, v22
	v_sub_f16_e32 v22, v23, v25
	v_add_f16_e32 v23, v97, v23
	v_add_f16_e32 v46, v46, v102
	v_fmac_f16_e32 v97, -0.5, v29
	v_add_f16_e32 v29, v37, v42
	v_fmamk_f16 v37, v22, 0xbaee, v2
	v_fmac_f16_e32 v2, 0x3aee, v22
	v_add_f16_e32 v22, v23, v25
	v_pack_b32_f16 v25, v47, v28
	v_pack_b32_f16 v0, v0, v44
	;; [unrolled: 1-line block ×5, first 2 shown]
	v_sub_f16_e32 v26, v26, v42
	ds_store_b32 v57, v25 offset:6272
	ds_store_b32 v57, v0 offset:12544
	ds_store_2addr_b32 v57, v3, v4 offset1:224
	v_pack_b32_f16 v0, v43, v24
	v_pack_b32_f16 v3, v30, v8
	ds_store_b32 v57, v1 offset:13440
	v_pack_b32_f16 v1, v45, v5
	v_pack_b32_f16 v5, v31, v7
	;; [unrolled: 1-line block ×4, first 2 shown]
	v_fmamk_f16 v23, v26, 0x3aee, v97
	v_pack_b32_f16 v7, v32, v18
	v_pack_b32_f16 v8, v34, v20
	v_fmac_f16_e32 v97, 0xbaee, v26
	ds_store_2addr_b32 v38, v0, v3 offset1:224
	ds_store_2addr_b32 v13, v1, v5 offset1:224
	;; [unrolled: 1-line block ×3, first 2 shown]
	v_pack_b32_f16 v0, v33, v11
	v_pack_b32_f16 v3, v35, v19
	;; [unrolled: 1-line block ×5, first 2 shown]
	ds_store_2addr_b32 v40, v7, v8 offset1:224
	v_pack_b32_f16 v4, v36, v27
	v_pack_b32_f16 v7, v37, v23
	;; [unrolled: 1-line block ×3, first 2 shown]
	ds_store_2addr_b32 v39, v0, v3 offset1:224
	ds_store_2addr_b32 v14, v1, v5 offset1:224
	ds_store_b32 v57, v6 offset:5376
	ds_store_2addr_b32 v12, v4, v7 offset1:224
	ds_store_b32 v57, v2 offset:17920
	global_wb scope:SCOPE_SE
	s_wait_dscnt 0x0
	s_barrier_signal -1
	s_barrier_wait -1
	global_inv scope:SCOPE_SE
	ds_load_2addr_b32 v[10:11], v57 offset1:224
	v_add_nc_u32_e32 v4, 0x900, v57
	s_wait_dscnt 0x0
	v_lshrrev_b32_e32 v2, 16, v10
	v_mul_f16_e32 v3, v90, v10
	s_delay_alu instid0(VALU_DEP_2) | instskip(NEXT) | instid1(VALU_DEP_2)
	v_mul_f16_e32 v0, v90, v2
	v_fma_f16 v2, v86, v2, -v3
	s_delay_alu instid0(VALU_DEP_2) | instskip(NEXT) | instid1(VALU_DEP_2)
	v_fmac_f16_e32 v0, v86, v10
	v_cvt_f32_f16_e32 v2, v2
	ds_load_2addr_b32 v[9:10], v4 offset0:12 offset1:236
	v_cvt_f32_f16_e32 v0, v0
	v_cvt_f64_f32_e32 v[2:3], v2
	s_delay_alu instid0(VALU_DEP_2) | instskip(SKIP_3) | instid1(VALU_DEP_3)
	v_cvt_f64_f32_e32 v[0:1], v0
	s_wait_dscnt 0x0
	v_lshrrev_b32_e32 v6, 16, v9
	s_wait_alu 0xfffe
	v_mul_f64_e32 v[4:5], s[10:11], v[2:3]
	s_delay_alu instid0(VALU_DEP_2) | instskip(NEXT) | instid1(VALU_DEP_4)
	v_mul_f16_e32 v2, v89, v6
	v_mul_f64_e32 v[0:1], s[10:11], v[0:1]
	s_delay_alu instid0(VALU_DEP_2) | instskip(SKIP_1) | instid1(VALU_DEP_2)
	v_fmac_f16_e32 v2, v88, v9
	v_mul_f16_e32 v9, v89, v9
	v_cvt_f32_f16_e32 v2, v2
	s_delay_alu instid0(VALU_DEP_2) | instskip(NEXT) | instid1(VALU_DEP_1)
	v_fma_f16 v6, v88, v6, -v9
	v_cvt_f32_f16_e32 v6, v6
	v_and_or_b32 v4, 0x1ff, v5, v4
	v_lshrrev_b32_e32 v14, 8, v5
	v_bfe_u32 v18, v5, 20, 11
	v_lshrrev_b32_e32 v5, 16, v5
	v_and_or_b32 v0, 0x1ff, v1, v0
	v_lshrrev_b32_e32 v3, 8, v1
	v_bfe_u32 v7, v1, 20, 11
	s_delay_alu instid0(VALU_DEP_3) | instskip(NEXT) | instid1(VALU_DEP_2)
	v_cmp_ne_u32_e64 s0, 0, v0
	v_sub_nc_u32_e32 v8, 0x3f1, v7
	v_add_nc_u32_e32 v19, 0xfffffc10, v7
	s_wait_alu 0xf1ff
	s_delay_alu instid0(VALU_DEP_3) | instskip(SKIP_2) | instid1(VALU_DEP_3)
	v_cndmask_b32_e64 v0, 0, 1, s0
	v_cmp_ne_u32_e64 s0, 0, v4
	v_med3_i32 v8, v8, 0, 13
	v_and_or_b32 v0, 0xffe, v3, v0
	v_cvt_f64_f32_e32 v[2:3], v2
	s_wait_alu 0xf1ff
	v_cndmask_b32_e64 v4, 0, 1, s0
	s_delay_alu instid0(VALU_DEP_3) | instskip(NEXT) | instid1(VALU_DEP_2)
	v_or_b32_e32 v12, 0x1000, v0
	v_and_or_b32 v20, 0xffe, v14, v4
	v_sub_nc_u32_e32 v4, 0x3f1, v18
	s_delay_alu instid0(VALU_DEP_3) | instskip(NEXT) | instid1(VALU_DEP_2)
	v_lshrrev_b32_e32 v13, v8, v12
	v_med3_i32 v4, v4, 0, 13
	s_delay_alu instid0(VALU_DEP_2) | instskip(NEXT) | instid1(VALU_DEP_1)
	v_lshlrev_b32_e32 v8, v8, v13
	v_cmp_ne_u32_e64 s0, v8, v12
	v_or_b32_e32 v12, 0x1000, v20
	s_wait_alu 0xf1ff
	s_delay_alu instid0(VALU_DEP_2) | instskip(SKIP_1) | instid1(VALU_DEP_3)
	v_cndmask_b32_e64 v8, 0, 1, s0
	v_cmp_gt_i32_e64 s0, 1, v19
	v_lshrrev_b32_e32 v21, v4, v12
	s_delay_alu instid0(VALU_DEP_3) | instskip(SKIP_1) | instid1(VALU_DEP_3)
	v_or_b32_e32 v7, v13, v8
	v_lshl_or_b32 v8, v19, 12, v0
	v_lshlrev_b32_e32 v22, v4, v21
	s_wait_alu 0xf1ff
	s_delay_alu instid0(VALU_DEP_2) | instskip(SKIP_1) | instid1(VALU_DEP_3)
	v_cndmask_b32_e64 v14, v8, v7, s0
	v_cvt_f64_f32_e32 v[6:7], v6
	v_cmp_ne_u32_e64 s2, v22, v12
	v_mul_f64_e32 v[8:9], s[10:11], v[2:3]
	v_add_nc_u32_e32 v2, 0x1200, v57
	v_and_b32_e32 v13, 7, v14
	v_lshrrev_b32_e32 v14, 2, v14
	v_add_nc_u32_e32 v22, 0xfffffc10, v18
	ds_load_2addr_b32 v[3:4], v2 offset0:24 offset1:248
	v_cmp_lt_i32_e64 s0, 5, v13
	v_cmp_eq_u32_e64 s1, 3, v13
	s_wait_alu 0xf1ff
	v_cndmask_b32_e64 v2, 0, 1, s2
	v_lshl_or_b32 v18, v22, 12, v20
	v_mad_co_u64_u32 v[12:13], null, s6, v17, 0
	s_or_b32 s0, s1, s0
	s_delay_alu instid0(VALU_DEP_3) | instskip(SKIP_3) | instid1(VALU_DEP_4)
	v_or_b32_e32 v2, v21, v2
	s_wait_alu 0xfffe
	v_add_co_ci_u32_e64 v14, s0, 0, v14, s0
	v_cmp_ne_u32_e64 s0, 0, v0
	v_mov_b32_e32 v0, v13
	s_wait_alu 0xf1ff
	s_delay_alu instid0(VALU_DEP_2) | instskip(SKIP_3) | instid1(VALU_DEP_3)
	v_cndmask_b32_e64 v21, 0, 1, s0
	v_cmp_gt_i32_e64 s0, 1, v22
	s_wait_dscnt 0x0
	v_lshrrev_b32_e32 v24, 16, v3
	v_lshl_or_b32 v21, v21, 9, 0x7c00
	s_wait_alu 0xf1ff
	v_cndmask_b32_e64 v2, v18, v2, s0
	v_cmp_gt_i32_e64 s0, 31, v19
	s_delay_alu instid0(VALU_DEP_2) | instskip(SKIP_1) | instid1(VALU_DEP_2)
	v_and_b32_e32 v23, 7, v2
	s_wait_alu 0xf1ff
	v_cndmask_b32_e64 v18, 0x7c00, v14, s0
	v_cmp_eq_u32_e64 s0, 0x40f, v19
	v_mad_co_u64_u32 v[13:14], null, s7, v17, v[0:1]
	v_cmp_eq_u32_e64 s1, 3, v23
	v_lshrrev_b32_e32 v2, 2, v2
	s_wait_alu 0xf1ff
	v_cndmask_b32_e64 v14, v18, v21, s0
	v_cmp_lt_i32_e64 s0, 5, v23
	v_mul_f64_e32 v[17:18], s[10:11], v[6:7]
	v_mul_f16_e32 v0, v87, v24
	v_and_or_b32 v6, 0x1ff, v9, v8
	v_lshrrev_b32_e32 v19, 8, v9
	s_or_b32 s0, s1, s0
	v_bfe_u32 v21, v9, 20, 11
	s_wait_alu 0xfffe
	v_add_co_ci_u32_e64 v2, s0, 0, v2, s0
	v_fmac_f16_e32 v0, v85, v3
	v_cmp_ne_u32_e64 s0, 0, v6
	v_sub_nc_u32_e32 v23, 0x3f1, v21
	v_lshrrev_b32_e32 v1, 16, v1
	s_delay_alu instid0(VALU_DEP_4)
	v_cvt_f32_f16_e32 v0, v0
	s_wait_alu 0xf1ff
	v_cndmask_b32_e64 v8, 0, 1, s0
	v_cmp_ne_u32_e64 s0, 0, v20
	v_med3_i32 v23, v23, 0, 13
	v_and_or_b32 v14, 0x8000, v1, v14
	v_cvt_f64_f32_e32 v[6:7], v0
	v_and_or_b32 v8, 0xffe, v19, v8
	s_wait_alu 0xf1ff
	v_cndmask_b32_e64 v0, 0, 1, s0
	v_cmp_gt_i32_e64 s0, 31, v22
	v_mad_co_u64_u32 v[19:20], null, s4, v82, 0
	v_or_b32_e32 v25, 0x1000, v8
	s_delay_alu instid0(VALU_DEP_4)
	v_lshl_or_b32 v0, v0, 9, 0x7c00
	s_wait_alu 0xf1ff
	v_cndmask_b32_e64 v2, 0x7c00, v2, s0
	v_cmp_eq_u32_e64 s0, 0x40f, v22
	v_and_b32_e32 v14, 0xffff, v14
	v_lshrrev_b32_e32 v22, v23, v25
	s_wait_alu 0xf1ff
	s_delay_alu instid0(VALU_DEP_3) | instskip(SKIP_1) | instid1(VALU_DEP_2)
	v_cndmask_b32_e64 v2, v2, v0, s0
	v_mov_b32_e32 v0, v20
	v_and_or_b32 v26, 0x8000, v5, v2
	v_lshlrev_b32_e32 v2, v23, v22
	s_delay_alu instid0(VALU_DEP_3) | instskip(SKIP_2) | instid1(VALU_DEP_4)
	v_mad_co_u64_u32 v[0:1], null, s5, v82, v[0:1]
	v_mul_f16_e32 v1, v87, v3
	v_and_or_b32 v3, 0x1ff, v18, v17
	v_cmp_ne_u32_e64 s0, v2, v25
	v_add_nc_u32_e32 v17, 0xfffffc10, v21
	v_lshrrev_b32_e32 v5, 8, v18
	v_fma_f16 v1, v85, v24, -v1
	v_bfe_u32 v23, v18, 20, 11
	s_wait_alu 0xf1ff
	v_cndmask_b32_e64 v2, 0, 1, s0
	v_cmp_ne_u32_e64 s0, 0, v3
	v_lshl_or_b32 v24, v17, 12, v8
	v_cvt_f32_f16_e32 v21, v1
	v_lshl_or_b32 v14, v26, 16, v14
	v_or_b32_e32 v20, v22, v2
	s_wait_alu 0xf1ff
	v_cndmask_b32_e64 v3, 0, 1, s0
	v_cmp_gt_i32_e64 s0, 1, v17
	v_mul_f64_e32 v[1:2], s[10:11], v[6:7]
	v_cvt_f64_f32_e32 v[21:22], v21
	v_lshrrev_b32_e32 v18, 16, v18
	v_and_or_b32 v3, 0xffe, v5, v3
	v_sub_nc_u32_e32 v5, 0x3f1, v23
	s_wait_alu 0xf1ff
	v_cndmask_b32_e64 v7, v24, v20, s0
	v_dual_mov_b32 v20, v0 :: v_dual_add_nc_u32 v23, 0xfffffc10, v23
	v_or_b32_e32 v24, 0x1000, v3
	v_med3_i32 v25, v5, 0, 13
	v_lshlrev_b64_e32 v[5:6], 2, v[12:13]
	v_and_b32_e32 v0, 7, v7
	v_lshlrev_b64_e32 v[12:13], 2, v[19:20]
	v_lshl_or_b32 v20, v23, 12, v3
	v_lshrrev_b32_e32 v26, v25, v24
	v_add_co_u32 v5, s0, s8, v5
	s_wait_alu 0xf1ff
	v_add_co_ci_u32_e64 v27, s0, s9, v6, s0
	v_cmp_lt_i32_e64 s0, 5, v0
	v_cmp_eq_u32_e64 s1, 3, v0
	v_lshrrev_b32_e32 v0, 2, v7
	v_lshlrev_b32_e32 v19, v25, v26
	v_add_nc_u32_e32 v6, 0x1b80, v57
	s_delay_alu instid0(VALU_DEP_4)
	s_or_b32 s0, s1, s0
	s_wait_alu 0xfffe
	v_add_co_ci_u32_e64 v0, s0, 0, v0, s0
	v_cmp_ne_u32_e64 s2, v19, v24
	v_cmp_ne_u32_e64 s0, 0, v8
	ds_load_2addr_b32 v[6:7], v6 offset0:4 offset1:228
	s_wait_alu 0xf1ff
	v_cndmask_b32_e64 v19, 0, 1, s2
	v_cndmask_b32_e64 v8, 0, 1, s0
	v_cmp_gt_i32_e64 s0, 31, v17
	v_bfe_u32 v24, v2, 20, 11
	s_mul_u64 s[2:3], s[4:5], 0x24c
	v_or_b32_e32 v19, v26, v19
	v_lshl_or_b32 v8, v8, 9, 0x7c00
	v_cndmask_b32_e64 v0, 0x7c00, v0, s0
	v_cmp_gt_i32_e64 s0, 1, v23
	v_lshrrev_b32_e32 v26, 16, v9
	v_sub_nc_u32_e32 v9, 0x3f1, v24
	v_add_nc_u32_e32 v24, 0xfffffc10, v24
	s_wait_alu 0xfffe
	s_lshl_b64 s[6:7], s[2:3], 2
	v_cndmask_b32_e64 v19, v20, v19, s0
	v_cmp_eq_u32_e64 s0, 0x40f, v17
	v_and_or_b32 v20, 0x1ff, v2, v1
	s_wait_alu 0xf1ff
	s_delay_alu instid0(VALU_DEP_2)
	v_cndmask_b32_e64 v17, v0, v8, s0
	v_mul_f64_e32 v[0:1], s[10:11], v[21:22]
	s_wait_dscnt 0x0
	v_lshrrev_b32_e32 v21, 16, v6
	v_cmp_ne_u32_e64 s0, 0, v20
	v_and_b32_e32 v8, 7, v19
	v_lshrrev_b32_e32 v22, 8, v2
	v_and_or_b32 v17, 0x8000, v26, v17
	v_mul_f16_e32 v25, v84, v21
	s_wait_alu 0xf1ff
	v_cndmask_b32_e64 v20, 0, 1, s0
	v_cmp_lt_i32_e64 s0, 5, v8
	v_cmp_eq_u32_e64 s1, 3, v8
	v_lshrrev_b32_e32 v8, 2, v19
	v_fmac_f16_e32 v25, v83, v6
	v_and_or_b32 v22, 0xffe, v22, v20
	v_med3_i32 v20, v9, 0, 13
	s_or_b32 s0, s1, s0
	v_mul_f16_e32 v6, v84, v6
	v_cvt_f32_f16_e32 v9, v25
	v_or_b32_e32 v19, 0x1000, v22
	s_wait_alu 0xfffe
	v_add_co_ci_u32_e64 v25, s0, 0, v8, s0
	v_add_co_u32 v12, s0, v5, v12
	s_wait_alu 0xf1ff
	v_add_co_ci_u32_e64 v13, s0, v27, v13, s0
	v_lshrrev_b32_e32 v28, v20, v19
	v_cvt_f64_f32_e32 v[8:9], v9
	v_cmp_gt_i32_e64 s0, 31, v23
	v_fma_f16 v6, v83, v21, -v6
	v_lshl_or_b32 v21, v24, 12, v22
	v_lshlrev_b32_e32 v5, v20, v28
	v_and_b32_e32 v17, 0xffff, v17
	s_wait_alu 0xf1ff
	v_cndmask_b32_e64 v25, 0x7c00, v25, s0
	v_cmp_ne_u32_e64 s0, 0, v3
	v_cvt_f32_f16_e32 v6, v6
	v_lshrrev_b32_e32 v2, 16, v2
	s_wait_alu 0xf1ff
	s_delay_alu instid0(VALU_DEP_3)
	v_cndmask_b32_e64 v3, 0, 1, s0
	v_cmp_ne_u32_e64 s0, v5, v19
	v_and_or_b32 v0, 0x1ff, v1, v0
	v_cvt_f64_f32_e32 v[19:20], v6
	v_lshrrev_b32_e32 v26, 8, v1
	v_lshl_or_b32 v3, v3, 9, 0x7c00
	s_wait_alu 0xf1ff
	v_cndmask_b32_e64 v5, 0, 1, s0
	v_cmp_ne_u32_e64 s0, 0, v0
	v_bfe_u32 v27, v1, 20, 11
	v_add_nc_u32_e32 v6, 0x2480, v57
	v_lshrrev_b32_e32 v1, 16, v1
	v_or_b32_e32 v5, v28, v5
	s_wait_alu 0xf1ff
	v_cndmask_b32_e64 v0, 0, 1, s0
	v_cmp_eq_u32_e64 s0, 0x40f, v23
	s_delay_alu instid0(VALU_DEP_2) | instskip(SKIP_1) | instid1(VALU_DEP_2)
	v_and_or_b32 v0, 0xffe, v26, v0
	s_wait_alu 0xf1ff
	v_cndmask_b32_e64 v3, v25, v3, s0
	v_cmp_gt_i32_e64 s0, 1, v24
	s_delay_alu instid0(VALU_DEP_3) | instskip(NEXT) | instid1(VALU_DEP_3)
	v_or_b32_e32 v25, 0x1000, v0
	v_and_or_b32 v3, 0x8000, v18, v3
	s_wait_alu 0xf1ff
	s_delay_alu instid0(VALU_DEP_3) | instskip(SKIP_2) | instid1(VALU_DEP_3)
	v_cndmask_b32_e64 v21, v21, v5, s0
	v_sub_nc_u32_e32 v5, 0x3f1, v27
	v_mul_f64_e32 v[8:9], s[10:11], v[8:9]
	v_and_b32_e32 v23, 7, v21
	s_delay_alu instid0(VALU_DEP_3)
	v_med3_i32 v26, v5, 0, 13
	ds_load_2addr_b32 v[5:6], v6 offset0:16 offset1:240
	v_cmp_lt_i32_e64 s0, 5, v23
	v_cmp_eq_u32_e64 s1, 3, v23
	v_lshl_or_b32 v23, v3, 16, v17
	v_lshrrev_b32_e32 v3, 2, v21
	v_lshrrev_b32_e32 v18, v26, v25
	s_delay_alu instid0(VALU_DEP_4) | instskip(SKIP_1) | instid1(VALU_DEP_2)
	s_or_b32 s0, s1, s0
	s_wait_alu 0xfffe
	v_add_co_ci_u32_e64 v3, s0, 0, v3, s0
	s_delay_alu instid0(VALU_DEP_2) | instskip(SKIP_2) | instid1(VALU_DEP_1)
	v_lshlrev_b32_e32 v17, v26, v18
	v_cmp_ne_u32_e64 s0, 0, v22
	s_wait_alu 0xf1ff
	v_cndmask_b32_e64 v21, 0, 1, s0
	s_delay_alu instid0(VALU_DEP_3)
	v_cmp_ne_u32_e64 s0, v17, v25
	v_add_nc_u32_e32 v25, 0xfffffc10, v27
	s_wait_dscnt 0x0
	v_lshrrev_b32_e32 v26, 16, v5
	v_lshl_or_b32 v21, v21, 9, 0x7c00
	s_wait_alu 0xf1ff
	v_cndmask_b32_e64 v17, 0, 1, s0
	v_cmp_gt_i32_e64 s0, 31, v24
	v_lshl_or_b32 v27, v25, 12, v0
	v_mul_f16_e32 v28, v81, v26
	s_delay_alu instid0(VALU_DEP_4)
	v_or_b32_e32 v22, v18, v17
	s_wait_alu 0xf1ff
	v_cndmask_b32_e64 v3, 0x7c00, v3, s0
	v_mul_f64_e32 v[17:18], s[10:11], v[19:20]
	v_cmp_gt_i32_e64 s0, 1, v25
	v_fmac_f16_e32 v28, v78, v5
	v_and_or_b32 v8, 0x1ff, v9, v8
	s_wait_alu 0xf1ff
	s_delay_alu instid0(VALU_DEP_3)
	v_cndmask_b32_e64 v22, v27, v22, s0
	v_add_co_u32 v19, s0, v12, s6
	s_wait_alu 0xf1ff
	v_add_co_ci_u32_e64 v20, s0, s7, v13, s0
	v_cmp_eq_u32_e64 s0, 0x40f, v24
	v_and_b32_e32 v27, 7, v22
	v_lshrrev_b32_e32 v24, 2, v22
	v_cmp_ne_u32_e64 s2, 0, v8
	s_wait_alu 0xf1ff
	v_cndmask_b32_e64 v3, v3, v21, s0
	v_cvt_f32_f16_e32 v21, v28
	v_cmp_lt_i32_e64 s0, 5, v27
	v_cmp_eq_u32_e64 s1, 3, v27
	v_cndmask_b32_e64 v8, 0, 1, s2
	v_lshrrev_b32_e32 v27, 8, v9
	v_cvt_f64_f32_e32 v[21:22], v21
	v_bfe_u32 v28, v9, 20, 11
	s_or_b32 s0, s1, s0
	v_lshrrev_b32_e32 v9, 16, v9
	s_wait_alu 0xfffe
	v_add_co_ci_u32_e64 v24, s0, 0, v24, s0
	v_cmp_ne_u32_e64 s0, 0, v0
	v_and_or_b32 v8, 0xffe, v27, v8
	v_sub_nc_u32_e32 v27, 0x3f1, v28
	s_wait_alu 0xf1ff
	s_delay_alu instid0(VALU_DEP_3) | instskip(SKIP_3) | instid1(VALU_DEP_4)
	v_cndmask_b32_e64 v0, 0, 1, s0
	v_cmp_gt_i32_e64 s0, 31, v25
	v_or_b32_e32 v29, 0x1000, v8
	v_med3_i32 v27, v27, 0, 13
	v_lshl_or_b32 v0, v0, 9, 0x7c00
	s_wait_alu 0xf1ff
	v_cndmask_b32_e64 v24, 0x7c00, v24, s0
	v_cmp_eq_u32_e64 s0, 0x40f, v25
	v_and_or_b32 v17, 0x1ff, v18, v17
	v_and_or_b32 v25, 0x8000, v2, v3
	v_mul_f16_e32 v2, v81, v5
	v_lshrrev_b32_e32 v3, 8, v18
	s_wait_alu 0xf1ff
	v_cndmask_b32_e64 v0, v24, v0, s0
	v_lshrrev_b32_e32 v24, v27, v29
	v_cmp_ne_u32_e64 s0, 0, v17
	v_fma_f16 v2, v78, v26, -v2
	v_bfe_u32 v17, v18, 20, 11
	v_and_or_b32 v5, 0x8000, v1, v0
	v_lshlrev_b32_e32 v0, v27, v24
	s_wait_alu 0xf1ff
	v_cndmask_b32_e64 v1, 0, 1, s0
	v_cvt_f32_f16_e32 v2, v2
	v_add_nc_u32_e32 v26, 0xfffffc10, v28
	v_add_nc_u32_e32 v28, 0x2d80, v57
	v_cmp_ne_u32_e64 s0, v0, v29
	v_and_or_b32 v27, 0xffe, v3, v1
	v_cvt_f64_f32_e32 v[2:3], v2
	v_sub_nc_u32_e32 v1, 0x3f1, v17
	v_mul_f64_e32 v[21:22], s[10:11], v[21:22]
	s_wait_alu 0xf1ff
	v_cndmask_b32_e64 v0, 0, 1, s0
	v_lshl_or_b32 v29, v26, 12, v8
	v_cmp_gt_i32_e64 s0, 1, v26
	v_med3_i32 v31, v1, 0, 13
	v_or_b32_e32 v30, 0x1000, v27
	v_or_b32_e32 v24, v24, v0
	ds_load_2addr_b32 v[0:1], v28 offset0:28 offset1:252
	s_clause 0x1
	global_store_b32 v[12:13], v14, off
	global_store_b32 v[19:20], v23, off
	v_add_nc_u32_e32 v17, 0xfffffc10, v17
	v_lshrrev_b32_e32 v28, v31, v30
	s_wait_alu 0xf1ff
	v_cndmask_b32_e64 v24, v29, v24, s0
	v_add_co_u32 v12, s0, v19, s6
	s_wait_alu 0xf1ff
	v_add_co_ci_u32_e64 v13, s0, s7, v20, s0
	s_delay_alu instid0(VALU_DEP_3) | instskip(SKIP_3) | instid1(VALU_DEP_4)
	v_and_b32_e32 v14, 7, v24
	v_lshlrev_b32_e32 v23, v31, v28
	v_and_b32_e32 v25, 0xffff, v25
	v_lshl_or_b32 v20, v17, 12, v27
	v_cmp_lt_i32_e64 s0, 5, v14
	v_cmp_eq_u32_e64 s1, 3, v14
	v_lshrrev_b32_e32 v14, 2, v24
	v_cmp_ne_u32_e64 s2, v23, v30
	v_lshl_or_b32 v5, v5, 16, v25
	s_delay_alu instid0(VALU_DEP_4)
	s_or_b32 s0, s1, s0
	s_wait_dscnt 0x0
	v_lshrrev_b32_e32 v23, 16, v0
	s_wait_alu 0xfffe
	v_add_co_ci_u32_e64 v14, s0, 0, v14, s0
	v_cndmask_b32_e64 v19, 0, 1, s2
	v_cmp_gt_i32_e64 s0, 31, v26
	v_mul_f16_e32 v24, v80, v23
	v_cmp_eq_u32_e64 s2, 0x40f, v26
	global_store_b32 v[12:13], v5, off
	v_or_b32_e32 v19, v28, v19
	s_wait_alu 0xf1ff
	v_cndmask_b32_e64 v14, 0x7c00, v14, s0
	v_cmp_gt_i32_e64 s0, 1, v17
	v_fmac_f16_e32 v24, v79, v0
	v_and_or_b32 v21, 0x1ff, v22, v21
	v_lshrrev_b32_e32 v28, 8, v22
	v_bfe_u32 v29, v22, 20, 11
	s_wait_alu 0xf1ff
	v_cndmask_b32_e64 v25, v20, v19, s0
	v_mul_f64_e32 v[19:20], s[10:11], v[2:3]
	v_cmp_ne_u32_e64 s0, 0, v8
	v_cvt_f32_f16_e32 v2, v24
	v_mul_f16_e32 v0, v80, v0
	v_and_b32_e32 v24, 7, v25
	s_wait_alu 0xf1ff
	v_cndmask_b32_e64 v8, 0, 1, s0
	v_cmp_ne_u32_e64 s0, 0, v21
	v_cvt_f64_f32_e32 v[2:3], v2
	v_cmp_eq_u32_e64 s1, 3, v24
	v_fma_f16 v0, v79, v23, -v0
	v_lshl_or_b32 v8, v8, 9, 0x7c00
	s_wait_alu 0xf1ff
	v_cndmask_b32_e64 v21, 0, 1, s0
	v_cmp_lt_i32_e64 s0, 5, v24
	v_sub_nc_u32_e32 v24, 0x3f1, v29
	v_cvt_f32_f16_e32 v0, v0
	v_cndmask_b32_e64 v8, v14, v8, s2
	v_lshrrev_b32_e32 v14, 2, v25
	v_and_or_b32 v21, 0xffe, v28, v21
	s_or_b32 s0, s1, s0
	v_med3_i32 v24, v24, 0, 13
	v_and_or_b32 v28, 0x8000, v9, v8
	s_wait_alu 0xfffe
	v_add_co_ci_u32_e64 v14, s0, 0, v14, s0
	v_or_b32_e32 v25, 0x1000, v21
	v_cmp_ne_u32_e64 s0, 0, v27
	s_delay_alu instid0(VALU_DEP_2) | instskip(SKIP_1) | instid1(VALU_DEP_2)
	v_lshrrev_b32_e32 v27, v24, v25
	s_wait_alu 0xf1ff
	v_cndmask_b32_e64 v26, 0, 1, s0
	v_cmp_gt_i32_e64 s0, 31, v17
	s_delay_alu instid0(VALU_DEP_3) | instskip(NEXT) | instid1(VALU_DEP_3)
	v_lshlrev_b32_e32 v24, v24, v27
	v_lshl_or_b32 v26, v26, 9, 0x7c00
	s_wait_alu 0xf1ff
	s_delay_alu instid0(VALU_DEP_3) | instskip(SKIP_4) | instid1(VALU_DEP_3)
	v_cndmask_b32_e64 v14, 0x7c00, v14, s0
	v_cmp_eq_u32_e64 s0, 0x40f, v17
	v_and_or_b32 v9, 0x1ff, v20, v19
	v_lshrrev_b32_e32 v19, 16, v18
	s_wait_alu 0xf1ff
	v_cndmask_b32_e64 v14, v14, v26, s0
	v_cmp_ne_u32_e64 s0, v24, v25
	v_add_nc_u32_e32 v25, 0xfffffc10, v29
	v_mul_f64_e32 v[17:18], s[10:11], v[2:3]
	v_lshrrev_b32_e32 v2, 8, v20
	s_wait_alu 0xf1ff
	v_cndmask_b32_e64 v8, 0, 1, s0
	v_cmp_ne_u32_e64 s0, 0, v9
	v_lshl_or_b32 v24, v25, 12, v21
	v_and_or_b32 v14, 0x8000, v19, v14
	v_add_nc_u32_e32 v3, 0x3700, v57
	v_or_b32_e32 v23, v27, v8
	s_wait_alu 0xf1ff
	v_cndmask_b32_e64 v26, 0, 1, s0
	v_cmp_gt_i32_e64 s0, 1, v25
	v_cvt_f64_f32_e32 v[8:9], v0
	v_bfe_u32 v27, v20, 20, 11
	s_delay_alu instid0(VALU_DEP_4)
	v_and_or_b32 v19, 0xffe, v2, v26
	s_wait_alu 0xf1ff
	v_cndmask_b32_e64 v0, v24, v23, s0
	v_and_b32_e32 v26, 0xffff, v28
	v_sub_nc_u32_e32 v23, 0x3f1, v27
	ds_load_2addr_b32 v[2:3], v3 offset0:8 offset1:232
	v_or_b32_e32 v28, 0x1000, v19
	v_and_b32_e32 v24, 7, v0
	v_lshrrev_b32_e32 v0, 2, v0
	v_med3_i32 v23, v23, 0, 13
	v_lshl_or_b32 v14, v14, 16, v26
	v_add_nc_u32_e32 v27, 0xfffffc10, v27
	v_cmp_lt_i32_e64 s0, 5, v24
	v_cmp_eq_u32_e64 s1, 3, v24
	v_lshrrev_b32_e32 v5, v23, v28
	s_delay_alu instid0(VALU_DEP_4) | instskip(NEXT) | instid1(VALU_DEP_3)
	v_lshl_or_b32 v29, v27, 12, v19
	s_or_b32 s0, s1, s0
	s_delay_alu instid0(VALU_DEP_2)
	v_lshlrev_b32_e32 v23, v23, v5
	s_wait_alu 0xfffe
	v_add_co_ci_u32_e64 v0, s0, 0, v0, s0
	v_add_co_u32 v12, s0, v12, s6
	s_wait_alu 0xf1ff
	v_add_co_ci_u32_e64 v13, s0, s7, v13, s0
	v_cmp_gt_i32_e64 s0, 31, v25
	v_and_or_b32 v17, 0x1ff, v18, v17
	s_wait_dscnt 0x0
	v_lshrrev_b32_e32 v26, 16, v2
	s_wait_alu 0xf1ff
	v_cndmask_b32_e64 v0, 0x7c00, v0, s0
	v_cmp_ne_u32_e64 s0, v23, v28
	s_delay_alu instid0(VALU_DEP_3) | instskip(SKIP_1) | instid1(VALU_DEP_2)
	v_mul_f16_e32 v28, v77, v26
	s_wait_alu 0xf1ff
	v_cndmask_b32_e64 v23, 0, 1, s0
	v_cmp_ne_u32_e64 s0, 0, v21
	s_delay_alu instid0(VALU_DEP_3) | instskip(SKIP_1) | instid1(VALU_DEP_4)
	v_fmac_f16_e32 v28, v76, v2
	v_mul_f16_e32 v2, v77, v2
	v_or_b32_e32 v5, v5, v23
	s_wait_alu 0xf1ff
	v_cndmask_b32_e64 v21, 0, 1, s0
	v_cmp_ne_u32_e64 s0, 0, v17
	v_mul_f64_e32 v[23:24], s[10:11], v[8:9]
	v_lshrrev_b32_e32 v9, 8, v18
	v_bfe_u32 v17, v18, 20, 11
	v_cvt_f32_f16_e32 v28, v28
	s_wait_alu 0xf1ff
	v_cndmask_b32_e64 v8, 0, 1, s0
	v_cmp_gt_i32_e64 s0, 1, v27
	v_lshl_or_b32 v21, v21, 9, 0x7c00
	v_sub_nc_u32_e32 v30, 0x3f1, v17
	v_fma_f16 v2, v76, v26, -v2
	v_add_nc_u32_e32 v17, 0xfffffc10, v17
	s_wait_alu 0xf1ff
	v_cndmask_b32_e64 v5, v29, v5, s0
	v_and_or_b32 v29, 0xffe, v9, v8
	v_med3_i32 v30, v30, 0, 13
	v_cmp_eq_u32_e64 s0, 0x40f, v25
	v_cvt_f64_f32_e32 v[8:9], v28
	v_and_b32_e32 v28, 7, v5
	v_or_b32_e32 v31, 0x1000, v29
	v_lshrrev_b32_e32 v5, 2, v5
	s_wait_alu 0xf1ff
	v_cndmask_b32_e64 v0, v0, v21, s0
	v_lshrrev_b32_e32 v21, 16, v22
	v_cmp_lt_i32_e64 s0, 5, v28
	v_lshrrev_b32_e32 v22, v30, v31
	v_cmp_eq_u32_e64 s1, 3, v28
	v_cvt_f32_f16_e32 v2, v2
	v_and_or_b32 v0, 0x8000, v21, v0
	v_add_nc_u32_e32 v28, 0x4000, v57
	v_lshlrev_b32_e32 v21, v30, v22
	s_or_b32 s0, s1, s0
	s_wait_alu 0xfffe
	v_add_co_ci_u32_e64 v5, s0, 0, v5, s0
	s_delay_alu instid0(VALU_DEP_2) | instskip(SKIP_2) | instid1(VALU_DEP_2)
	v_cmp_ne_u32_e64 s0, v21, v31
	v_and_b32_e32 v0, 0xffff, v0
	s_wait_alu 0xf1ff
	v_cndmask_b32_e64 v21, 0, 1, s0
	v_cmp_gt_i32_e64 s0, 31, v27
	v_and_or_b32 v23, 0x1ff, v24, v23
	v_lshrrev_b32_e32 v30, 8, v24
	v_bfe_u32 v31, v24, 20, 11
	v_or_b32_e32 v25, v22, v21
	s_wait_alu 0xf1ff
	v_cndmask_b32_e64 v5, 0x7c00, v5, s0
	v_cmp_ne_u32_e64 s0, 0, v19
	v_cvt_f64_f32_e32 v[21:22], v2
	v_lshl_or_b32 v2, v17, 12, v29
	s_wait_alu 0xf1ff
	s_delay_alu instid0(VALU_DEP_3) | instskip(SKIP_1) | instid1(VALU_DEP_2)
	v_cndmask_b32_e64 v19, 0, 1, s0
	v_cmp_gt_i32_e64 s0, 1, v17
	v_lshl_or_b32 v19, v19, 9, 0x7c00
	s_wait_alu 0xf1ff
	s_delay_alu instid0(VALU_DEP_2)
	v_cndmask_b32_e64 v2, v2, v25, s0
	v_cmp_ne_u32_e64 s0, 0, v23
	v_mul_f64_e32 v[25:26], s[10:11], v[8:9]
	ds_load_2addr_b32 v[8:9], v28 offset0:20 offset1:244
	v_and_b32_e32 v28, 7, v2
	s_wait_alu 0xf1ff
	v_cndmask_b32_e64 v23, 0, 1, s0
	v_cmp_eq_u32_e64 s0, 0x40f, v27
	v_lshrrev_b32_e32 v2, 2, v2
	v_cmp_eq_u32_e64 s1, 3, v28
	s_delay_alu instid0(VALU_DEP_4)
	v_and_or_b32 v23, 0xffe, v30, v23
	v_sub_nc_u32_e32 v30, 0x3f1, v31
	s_wait_alu 0xf1ff
	v_cndmask_b32_e64 v5, v5, v19, s0
	v_cmp_lt_i32_e64 s0, 5, v28
	v_lshrrev_b32_e32 v19, 16, v20
	v_or_b32_e32 v27, 0x1000, v23
	v_med3_i32 v20, v30, 0, 13
	s_delay_alu instid0(VALU_DEP_4) | instskip(NEXT) | instid1(VALU_DEP_3)
	s_or_b32 s0, s1, s0
	v_and_or_b32 v5, 0x8000, v19, v5
	s_wait_alu 0xfffe
	v_add_co_ci_u32_e64 v2, s0, 0, v2, s0
	v_lshrrev_b32_e32 v28, v20, v27
	v_cmp_ne_u32_e64 s0, 0, v29
	s_wait_dscnt 0x0
	v_lshrrev_b32_e32 v30, 16, v8
	v_lshl_or_b32 v0, v5, 16, v0
	v_lshlrev_b32_e32 v32, v20, v28
	s_wait_alu 0xf1ff
	v_cndmask_b32_e64 v29, 0, 1, s0
	v_cmp_gt_i32_e64 s0, 31, v17
	v_mul_f64_e32 v[19:20], s[10:11], v[21:22]
	v_mul_f16_e32 v21, v75, v30
	s_delay_alu instid0(VALU_DEP_4)
	v_lshl_or_b32 v22, v29, 9, 0x7c00
	s_wait_alu 0xf1ff
	v_cndmask_b32_e64 v2, 0x7c00, v2, s0
	v_cmp_ne_u32_e64 s0, v32, v27
	v_add_nc_u32_e32 v29, 0xfffffc10, v31
	v_fmac_f16_e32 v21, v74, v8
	v_mul_f16_e32 v8, v75, v8
	v_and_or_b32 v25, 0x1ff, v26, v25
	s_wait_alu 0xf1ff
	v_cndmask_b32_e64 v27, 0, 1, s0
	v_cmp_eq_u32_e64 s0, 0x40f, v17
	v_cvt_f32_f16_e32 v21, v21
	v_bfe_u32 v31, v26, 20, 11
	v_fma_f16 v8, v74, v30, -v8
	v_or_b32_e32 v17, v28, v27
	s_wait_alu 0xf1ff
	v_cndmask_b32_e64 v2, v2, v22, s0
	v_lshl_or_b32 v22, v29, 12, v23
	v_cmp_gt_i32_e64 s0, 1, v29
	v_lshrrev_b32_e32 v27, 16, v18
	v_cvt_f32_f16_e32 v8, v8
	s_wait_alu 0xf1ff
	s_delay_alu instid0(VALU_DEP_3)
	v_cndmask_b32_e64 v22, v22, v17, s0
	v_cmp_ne_u32_e64 s0, 0, v25
	v_cvt_f64_f32_e32 v[17:18], v21
	v_lshrrev_b32_e32 v25, 8, v26
	v_and_or_b32 v2, 0x8000, v27, v2
	v_and_b32_e32 v28, 7, v22
	s_wait_alu 0xf1ff
	v_cndmask_b32_e64 v21, 0, 1, s0
	v_lshrrev_b32_e32 v22, 2, v22
	v_lshrrev_b32_e32 v26, 16, v26
	v_and_b32_e32 v2, 0xffff, v2
	v_cmp_lt_i32_e64 s0, 5, v28
	v_cmp_eq_u32_e64 s1, 3, v28
	v_and_or_b32 v5, 0xffe, v25, v21
	v_sub_nc_u32_e32 v21, 0x3f1, v31
	v_and_or_b32 v19, 0x1ff, v20, v19
	s_delay_alu instid0(VALU_DEP_4) | instskip(NEXT) | instid1(VALU_DEP_3)
	s_or_b32 s0, s1, s0
	v_or_b32_e32 v25, 0x1000, v5
	s_wait_alu 0xfffe
	v_add_co_ci_u32_e64 v22, s0, 0, v22, s0
	v_med3_i32 v21, v21, 0, 13
	v_cmp_ne_u32_e64 s0, 0, v23
	v_bfe_u32 v32, v20, 20, 11
	s_delay_alu instid0(VALU_DEP_3) | instskip(SKIP_1) | instid1(VALU_DEP_3)
	v_lshrrev_b32_e32 v27, v21, v25
	s_wait_alu 0xf1ff
	v_cndmask_b32_e64 v23, 0, 1, s0
	v_cmp_gt_i32_e64 s0, 31, v29
	s_delay_alu instid0(VALU_DEP_3) | instskip(NEXT) | instid1(VALU_DEP_3)
	v_lshlrev_b32_e32 v30, v21, v27
	v_lshl_or_b32 v23, v23, 9, 0x7c00
	s_wait_alu 0xf1ff
	s_delay_alu instid0(VALU_DEP_3) | instskip(SKIP_4) | instid1(VALU_DEP_3)
	v_cndmask_b32_e64 v28, 0x7c00, v22, s0
	v_cmp_ne_u32_e64 s0, 0, v19
	v_cvt_f64_f32_e32 v[21:22], v8
	v_lshrrev_b32_e32 v19, 8, v20
	s_wait_alu 0xf1ff
	v_cndmask_b32_e64 v8, 0, 1, s0
	v_cmp_ne_u32_e64 s0, v30, v25
	v_add_nc_u32_e32 v30, 0xfffffc10, v31
	v_mul_f64_e32 v[17:18], s[10:11], v[17:18]
	s_delay_alu instid0(VALU_DEP_4)
	v_and_or_b32 v8, 0xffe, v19, v8
	s_wait_alu 0xf1ff
	v_cndmask_b32_e64 v25, 0, 1, s0
	v_sub_nc_u32_e32 v19, 0x3f1, v32
	v_cmp_eq_u32_e64 s0, 0x40f, v29
	v_lshrrev_b32_e32 v29, 16, v24
	v_or_b32_e32 v31, 0x1000, v8
	v_or_b32_e32 v25, v27, v25
	v_lshl_or_b32 v27, v30, 12, v5
	v_med3_i32 v19, v19, 0, 13
	s_wait_alu 0xf1ff
	v_cndmask_b32_e64 v28, v28, v23, s0
	v_cmp_gt_i32_e64 s0, 1, v30
	s_delay_alu instid0(VALU_DEP_2) | instskip(SKIP_1) | instid1(VALU_DEP_2)
	v_and_or_b32 v28, 0x8000, v29, v28
	s_wait_alu 0xf1ff
	v_cndmask_b32_e64 v25, v27, v25, s0
	v_lshrrev_b32_e32 v27, v19, v31
	v_add_co_u32 v23, s0, v12, s6
	s_wait_alu 0xf1ff
	v_add_co_ci_u32_e64 v24, s0, s7, v13, s0
	s_delay_alu instid0(VALU_DEP_3)
	v_lshlrev_b32_e32 v19, v19, v27
	v_and_b32_e32 v29, 7, v25
	s_clause 0x1
	global_store_b32 v[12:13], v14, off
	global_store_b32 v[23:24], v0, off
	v_lshl_or_b32 v0, v28, 16, v2
	v_add_nc_u32_e32 v14, 0xfffffc10, v32
	v_cmp_ne_u32_e64 s1, v19, v31
	v_cmp_lt_i32_e64 s0, 5, v29
	v_lshrrev_b32_e32 v19, 2, v25
	v_mul_f64_e32 v[12:13], s[10:11], v[21:22]
	v_lshl_or_b32 v21, v14, 12, v8
	s_wait_alu 0xf1ff
	v_cndmask_b32_e64 v2, 0, 1, s1
	v_cmp_eq_u32_e64 s1, 3, v29
	v_lshrrev_b32_e32 v25, 16, v11
	s_delay_alu instid0(VALU_DEP_3) | instskip(NEXT) | instid1(VALU_DEP_3)
	v_or_b32_e32 v2, v27, v2
	s_or_b32 s0, s1, s0
	v_and_or_b32 v17, 0x1ff, v18, v17
	s_wait_alu 0xfffe
	v_add_co_ci_u32_e64 v19, s0, 0, v19, s0
	v_cmp_ne_u32_e64 s0, 0, v5
	v_mul_f16_e32 v22, v73, v25
	v_lshrrev_b32_e32 v27, 8, v18
	v_bfe_u32 v28, v18, 20, 11
	s_wait_alu 0xf1ff
	v_cndmask_b32_e64 v5, 0, 1, s0
	v_cmp_gt_i32_e64 s0, 1, v14
	v_fmac_f16_e32 v22, v71, v11
	v_mul_f16_e32 v11, v73, v11
	s_delay_alu instid0(VALU_DEP_4)
	v_lshl_or_b32 v5, v5, 9, 0x7c00
	s_wait_alu 0xf1ff
	v_cndmask_b32_e64 v2, v21, v2, s0
	v_cmp_gt_i32_e64 s0, 31, v30
	v_cvt_f32_f16_e32 v22, v22
	v_fma_f16 v11, v71, v25, -v11
	s_delay_alu instid0(VALU_DEP_4)
	v_and_b32_e32 v21, 7, v2
	s_wait_alu 0xf1ff
	v_cndmask_b32_e64 v19, 0x7c00, v19, s0
	v_cmp_ne_u32_e64 s0, 0, v17
	v_lshrrev_b32_e32 v2, 2, v2
	v_cvt_f32_f16_e32 v11, v11
	v_cmp_eq_u32_e64 s1, 3, v21
	s_wait_alu 0xf1ff
	v_cndmask_b32_e64 v17, 0, 1, s0
	v_cmp_eq_u32_e64 s0, 0x40f, v30
	v_and_or_b32 v12, 0x1ff, v13, v12
	v_lshrrev_b32_e32 v30, 8, v13
	s_delay_alu instid0(VALU_DEP_4)
	v_and_or_b32 v17, 0xffe, v27, v17
	s_wait_alu 0xf1ff
	v_cndmask_b32_e64 v5, v19, v5, s0
	v_cmp_lt_i32_e64 s0, 5, v21
	v_sub_nc_u32_e32 v19, 0x3f1, v28
	v_cvt_f64_f32_e32 v[21:22], v22
	v_or_b32_e32 v27, 0x1000, v17
	v_bfe_u32 v31, v13, 20, 11
	s_or_b32 s0, s1, s0
	v_med3_i32 v19, v19, 0, 13
	s_wait_alu 0xfffe
	v_add_co_ci_u32_e64 v2, s0, 0, v2, s0
	v_cmp_gt_i32_e64 s0, 31, v14
	v_and_or_b32 v5, 0x8000, v26, v5
	v_lshrrev_b32_e32 v29, v19, v27
	s_wait_alu 0xf1ff
	s_delay_alu instid0(VALU_DEP_3) | instskip(SKIP_1) | instid1(VALU_DEP_3)
	v_cndmask_b32_e64 v2, 0x7c00, v2, s0
	v_cmp_ne_u32_e64 s0, 0, v8
	v_lshlrev_b32_e32 v19, v19, v29
	v_and_b32_e32 v5, 0xffff, v5
	s_wait_alu 0xf1ff
	s_delay_alu instid0(VALU_DEP_3) | instskip(SKIP_1) | instid1(VALU_DEP_2)
	v_cndmask_b32_e64 v8, 0, 1, s0
	v_cmp_ne_u32_e64 s0, 0, v12
	v_lshl_or_b32 v8, v8, 9, 0x7c00
	s_wait_alu 0xf1ff
	s_delay_alu instid0(VALU_DEP_2) | instskip(SKIP_2) | instid1(VALU_DEP_3)
	v_cndmask_b32_e64 v12, 0, 1, s0
	v_cmp_ne_u32_e64 s0, v19, v27
	v_add_nc_u32_e32 v27, 0xfffffc10, v28
	v_and_or_b32 v28, 0xffe, v30, v12
	s_wait_alu 0xf1ff
	s_delay_alu instid0(VALU_DEP_3) | instskip(SKIP_3) | instid1(VALU_DEP_4)
	v_cndmask_b32_e64 v19, 0, 1, s0
	v_sub_nc_u32_e32 v12, 0x3f1, v31
	v_lshl_or_b32 v25, v27, 12, v17
	v_cmp_gt_i32_e64 s0, 1, v27
	v_or_b32_e32 v19, v29, v19
	v_or_b32_e32 v29, 0x1000, v28
	v_med3_i32 v30, v12, 0, 13
	v_cvt_f64_f32_e32 v[11:12], v11
	s_wait_alu 0xf1ff
	v_cndmask_b32_e64 v25, v25, v19, s0
	v_cmp_eq_u32_e64 s0, 0x40f, v14
	v_lshrrev_b32_e32 v32, v30, v29
	s_delay_alu instid0(VALU_DEP_3) | instskip(SKIP_1) | instid1(VALU_DEP_3)
	v_and_b32_e32 v14, 7, v25
	s_wait_alu 0xf1ff
	v_cndmask_b32_e64 v2, v2, v8, s0
	s_delay_alu instid0(VALU_DEP_3) | instskip(SKIP_3) | instid1(VALU_DEP_4)
	v_lshlrev_b32_e32 v30, v30, v32
	v_lshrrev_b32_e32 v8, 16, v20
	v_mul_f64_e32 v[19:20], s[10:11], v[21:22]
	v_add_co_u32 v21, s0, v23, s6
	v_cmp_ne_u32_e64 s1, v30, v29
	s_wait_alu 0xf1ff
	v_add_co_ci_u32_e64 v22, s0, s7, v24, s0
	v_and_or_b32 v2, 0x8000, v8, v2
	v_cmp_lt_i32_e64 s0, 5, v14
	v_cndmask_b32_e64 v8, 0, 1, s1
	v_cmp_eq_u32_e64 s1, 3, v14
	v_lshrrev_b32_e32 v14, 2, v25
	v_add_nc_u32_e32 v23, 0xfffffc10, v31
	v_lshl_or_b32 v2, v2, 16, v5
	v_or_b32_e32 v8, v32, v8
	s_or_b32 s0, s1, s0
	s_wait_alu 0xfffe
	v_add_co_ci_u32_e64 v14, s0, 0, v14, s0
	v_cmp_ne_u32_e64 s0, 0, v17
	v_lshl_or_b32 v24, v23, 12, v28
	s_wait_alu 0xf1ff
	s_delay_alu instid0(VALU_DEP_2) | instskip(SKIP_2) | instid1(VALU_DEP_3)
	v_cndmask_b32_e64 v17, 0, 1, s0
	v_cmp_gt_i32_e64 s0, 1, v23
	v_mul_f64_e32 v[11:12], s[10:11], v[11:12]
	v_lshl_or_b32 v17, v17, 9, 0x7c00
	s_wait_alu 0xf1ff
	s_delay_alu instid0(VALU_DEP_3) | instskip(SKIP_2) | instid1(VALU_DEP_3)
	v_cndmask_b32_e64 v8, v24, v8, s0
	v_cmp_gt_i32_e64 s0, 31, v27
	v_lshrrev_b32_e32 v24, 16, v10
	v_and_b32_e32 v5, 7, v8
	s_wait_alu 0xf1ff
	s_delay_alu instid0(VALU_DEP_3)
	v_cndmask_b32_e64 v14, 0x7c00, v14, s0
	v_cmp_eq_u32_e64 s0, 0x40f, v27
	v_lshrrev_b32_e32 v8, 2, v8
	v_bfe_u32 v25, v20, 20, 11
	v_cmp_eq_u32_e64 s1, 3, v5
	s_wait_alu 0xf1ff
	v_cndmask_b32_e64 v14, v14, v17, s0
	v_lshrrev_b32_e32 v17, 16, v18
	v_mul_f16_e32 v18, v72, v24
	v_cmp_lt_i32_e64 s0, 5, v5
	s_delay_alu instid0(VALU_DEP_3) | instskip(NEXT) | instid1(VALU_DEP_3)
	v_and_or_b32 v5, 0x8000, v17, v14
	v_fmac_f16_e32 v18, v70, v10
	v_and_or_b32 v14, 0x1ff, v20, v19
	s_delay_alu instid0(VALU_DEP_4)
	s_or_b32 s0, s1, s0
	v_lshrrev_b32_e32 v19, 8, v20
	s_wait_alu 0xfffe
	v_add_co_ci_u32_e64 v8, s0, 0, v8, s0
	v_cvt_f32_f16_e32 v17, v18
	v_cmp_ne_u32_e64 s0, 0, v14
	v_mul_f16_e32 v10, v72, v10
	v_and_b32_e32 v5, 0xffff, v5
	s_delay_alu instid0(VALU_DEP_4) | instskip(SKIP_4) | instid1(VALU_DEP_3)
	v_cvt_f64_f32_e32 v[17:18], v17
	s_wait_alu 0xf1ff
	v_cndmask_b32_e64 v14, 0, 1, s0
	v_cmp_ne_u32_e64 s0, 0, v28
	v_fma_f16 v10, v70, v24, -v10
	v_and_or_b32 v19, 0xffe, v19, v14
	s_wait_alu 0xf1ff
	s_delay_alu instid0(VALU_DEP_3)
	v_cndmask_b32_e64 v26, 0, 1, s0
	v_sub_nc_u32_e32 v14, 0x3f1, v25
	v_cmp_gt_i32_e64 s0, 31, v23
	v_cvt_f32_f16_e32 v10, v10
	v_or_b32_e32 v27, 0x1000, v19
	v_lshl_or_b32 v26, v26, 9, 0x7c00
	v_med3_i32 v28, v14, 0, 13
	s_wait_alu 0xf1ff
	v_cndmask_b32_e64 v8, 0x7c00, v8, s0
	v_cmp_eq_u32_e64 s0, 0x40f, v23
	v_lshrrev_b32_e32 v23, 16, v13
	v_add_nc_u32_e32 v25, 0xfffffc10, v25
	s_wait_alu 0xf1ff
	s_delay_alu instid0(VALU_DEP_3) | instskip(SKIP_4) | instid1(VALU_DEP_3)
	v_cndmask_b32_e64 v8, v8, v26, s0
	v_lshrrev_b32_e32 v26, v28, v27
	v_add_co_u32 v13, s0, v21, s6
	s_wait_alu 0xf1ff
	v_add_co_ci_u32_e64 v14, s0, s7, v22, s0
	v_lshlrev_b32_e32 v24, v28, v26
	v_and_or_b32 v8, 0x8000, v23, v8
	v_and_or_b32 v23, 0x1ff, v12, v11
	v_cvt_f64_f32_e32 v[10:11], v10
	v_bfe_u32 v28, v12, 20, 11
	v_cmp_ne_u32_e64 s0, v24, v27
	v_lshrrev_b32_e32 v27, 8, v12
	v_lshl_or_b32 v5, v8, 16, v5
	s_wait_alu 0xf1ff
	s_delay_alu instid0(VALU_DEP_3) | instskip(SKIP_2) | instid1(VALU_DEP_3)
	v_cndmask_b32_e64 v24, 0, 1, s0
	v_cmp_ne_u32_e64 s0, 0, v23
	v_mul_f64_e32 v[17:18], s[10:11], v[17:18]
	v_or_b32_e32 v8, v26, v24
	s_wait_alu 0xf1ff
	s_delay_alu instid0(VALU_DEP_3) | instskip(SKIP_2) | instid1(VALU_DEP_3)
	v_cndmask_b32_e64 v23, 0, 1, s0
	v_lshl_or_b32 v24, v25, 12, v19
	v_cmp_gt_i32_e64 s0, 1, v25
	v_and_or_b32 v26, 0xffe, v27, v23
	v_sub_nc_u32_e32 v23, 0x3f1, v28
	s_wait_alu 0xf1ff
	s_delay_alu instid0(VALU_DEP_3) | instskip(NEXT) | instid1(VALU_DEP_3)
	v_cndmask_b32_e64 v8, v24, v8, s0
	v_or_b32_e32 v27, 0x1000, v26
	s_delay_alu instid0(VALU_DEP_3) | instskip(SKIP_3) | instid1(VALU_DEP_3)
	v_med3_i32 v29, v23, 0, 13
	v_add_co_u32 v23, s0, v13, s6
	s_wait_alu 0xf1ff
	v_add_co_ci_u32_e64 v24, s0, s7, v14, s0
	v_lshrrev_b32_e32 v30, v29, v27
	v_and_b32_e32 v31, 7, v8
	global_store_b32 v[21:22], v0, off
	global_store_b32 v[13:14], v2, off
	;; [unrolled: 1-line block ×3, first 2 shown]
	v_lshrrev_b32_e32 v2, 16, v4
	v_lshrrev_b32_e32 v5, 2, v8
	v_lshlrev_b32_e32 v0, v29, v30
	v_cmp_lt_i32_e64 s0, 5, v31
	v_cmp_eq_u32_e64 s1, 3, v31
	v_mul_f16_e32 v13, v69, v2
	v_add_nc_u32_e32 v8, 0xfffffc10, v28
	v_cmp_ne_u32_e64 s2, v0, v27
	v_mul_f64_e32 v[10:11], s[10:11], v[10:11]
	s_or_b32 s0, s1, s0
	v_fmac_f16_e32 v13, v67, v4
	s_wait_alu 0xfffe
	v_add_co_ci_u32_e64 v5, s0, 0, v5, s0
	v_cndmask_b32_e64 v0, 0, 1, s2
	v_cmp_ne_u32_e64 s0, 0, v19
	v_lshl_or_b32 v14, v8, 12, v26
	v_cvt_f32_f16_e32 v13, v13
	v_and_or_b32 v17, 0x1ff, v18, v17
	v_or_b32_e32 v0, v30, v0
	s_wait_alu 0xf1ff
	v_cndmask_b32_e64 v19, 0, 1, s0
	v_cmp_gt_i32_e64 s0, 1, v8
	v_bfe_u32 v22, v18, 20, 11
	v_cmp_ne_u32_e64 s1, 0, v17
	v_mul_f16_e32 v4, v69, v4
	v_lshl_or_b32 v19, v19, 9, 0x7c00
	s_wait_alu 0xf1ff
	v_cndmask_b32_e64 v0, v14, v0, s0
	v_cmp_gt_i32_e64 s0, 31, v25
	v_cvt_f64_f32_e32 v[13:14], v13
	v_cndmask_b32_e64 v17, 0, 1, s1
	v_fma_f16 v2, v67, v2, -v4
	v_and_b32_e32 v21, 7, v0
	s_wait_alu 0xf1ff
	v_cndmask_b32_e64 v5, 0x7c00, v5, s0
	v_cmp_eq_u32_e64 s0, 0x40f, v25
	v_lshrrev_b32_e32 v0, 2, v0
	v_cvt_f32_f16_e32 v2, v2
	v_cmp_eq_u32_e64 s1, 3, v21
	s_movk_i32 s2, 0xf0cc
	s_wait_alu 0xf1ff
	v_cndmask_b32_e64 v5, v5, v19, s0
	v_cmp_lt_i32_e64 s0, 5, v21
	v_lshrrev_b32_e32 v19, 16, v20
	v_lshrrev_b32_e32 v20, 8, v18
	s_mov_b32 s3, -1
	s_delay_alu instid0(VALU_DEP_3) | instskip(NEXT) | instid1(VALU_DEP_2)
	s_or_b32 s0, s1, s0
	v_and_or_b32 v19, 0x8000, v19, v5
	s_wait_alu 0xfffe
	v_add_co_ci_u32_e64 v0, s0, 0, v0, s0
	v_and_or_b32 v17, 0xffe, v20, v17
	v_sub_nc_u32_e32 v5, 0x3f1, v22
	v_cmp_ne_u32_e64 s0, 0, v26
	v_and_or_b32 v10, 0x1ff, v11, v10
	v_lshrrev_b32_e32 v26, 8, v11
	v_or_b32_e32 v21, 0x1000, v17
	v_med3_i32 v5, v5, 0, 13
	s_wait_alu 0xf1ff
	v_cndmask_b32_e64 v20, 0, 1, s0
	v_cmp_gt_i32_e64 s0, 31, v8
	v_bfe_u32 v27, v11, 20, 11
	v_and_b32_e32 v19, 0xffff, v19
	v_lshrrev_b32_e32 v25, v5, v21
	v_lshl_or_b32 v20, v20, 9, 0x7c00
	s_wait_alu 0xf1ff
	v_cndmask_b32_e64 v0, 0x7c00, v0, s0
	v_cmp_eq_u32_e64 s0, 0x40f, v8
	v_lshrrev_b32_e32 v8, 16, v12
	v_lshrrev_b32_e32 v11, 16, v11
	v_mul_f64_e32 v[12:13], s[10:11], v[13:14]
	s_wait_alu 0xf1ff
	v_cndmask_b32_e64 v0, v0, v20, s0
	v_lshlrev_b32_e32 v20, v5, v25
	v_cmp_ne_u32_e64 s0, 0, v10
	v_cvt_f64_f32_e32 v[4:5], v2
	v_add_nc_u32_e32 v14, 0xfffffc10, v22
	v_and_or_b32 v0, 0x8000, v8, v0
	s_wait_alu 0xf1ff
	v_cndmask_b32_e64 v10, 0, 1, s0
	v_cmp_ne_u32_e64 s0, v20, v21
	v_sub_nc_u32_e32 v20, 0x3f1, v27
	v_lshl_or_b32 v8, v14, 12, v17
	v_lshl_or_b32 v0, v0, 16, v19
	v_and_or_b32 v10, 0xffe, v26, v10
	s_wait_alu 0xf1ff
	v_cndmask_b32_e64 v2, 0, 1, s0
	v_med3_i32 v20, v20, 0, 13
	v_cmp_gt_i32_e64 s0, 1, v14
	v_lshrrev_b32_e32 v26, 16, v7
	v_or_b32_e32 v21, 0x1000, v10
	v_or_b32_e32 v2, v25, v2
	s_wait_alu 0xf1ff
	s_delay_alu instid0(VALU_DEP_1) | instskip(NEXT) | instid1(VALU_DEP_3)
	v_cndmask_b32_e64 v2, v8, v2, s0
	v_lshrrev_b32_e32 v8, v20, v21
	s_mul_u64 s[0:1], s[4:5], s[2:3]
	v_cmp_eq_u32_e64 s2, 0x40f, v14
	s_wait_alu 0xfffe
	s_lshl_b64 s[4:5], s[0:1], 2
	v_and_b32_e32 v22, 7, v2
	v_lshlrev_b32_e32 v25, v20, v8
	s_wait_alu 0xfffe
	v_add_co_u32 v19, s0, v23, s4
	s_wait_alu 0xf1ff
	v_add_co_ci_u32_e64 v20, s0, s5, v24, s0
	v_cmp_ne_u32_e64 s1, v25, v21
	v_cmp_lt_i32_e64 s0, 5, v22
	v_mul_f16_e32 v23, v68, v26
	v_lshrrev_b32_e32 v2, 2, v2
	v_add_nc_u32_e32 v24, 0xfffffc10, v27
	s_wait_alu 0xf1ff
	v_cndmask_b32_e64 v21, 0, 1, s1
	v_cmp_eq_u32_e64 s1, 3, v22
	v_mul_f64_e32 v[4:5], s[10:11], v[4:5]
	v_fmac_f16_e32 v23, v65, v7
	v_and_or_b32 v12, 0x1ff, v13, v12
	v_or_b32_e32 v8, v8, v21
	s_or_b32 s0, s1, s0
	v_lshl_or_b32 v21, v24, 12, v10
	s_wait_alu 0xfffe
	v_add_co_ci_u32_e64 v2, s0, 0, v2, s0
	v_cmp_gt_i32_e64 s0, 1, v24
	v_cvt_f32_f16_e32 v22, v23
	v_lshrrev_b32_e32 v23, 8, v13
	v_bfe_u32 v25, v13, 20, 11
	v_mul_f16_e32 v7, v68, v7
	s_wait_alu 0xf1ff
	v_cndmask_b32_e64 v8, v21, v8, s0
	v_cmp_ne_u32_e64 s0, 0, v12
	v_cvt_f64_f32_e32 v[21:22], v22
	global_store_b32 v[19:20], v0, off
	v_fma_f16 v7, v65, v26, -v7
	v_and_b32_e32 v27, 7, v8
	s_wait_alu 0xf1ff
	v_cndmask_b32_e64 v12, 0, 1, s0
	v_cmp_ne_u32_e64 s0, 0, v17
	v_lshrrev_b32_e32 v8, 2, v8
	v_lshrrev_b32_e32 v13, 16, v13
	v_cmp_eq_u32_e64 s1, 3, v27
	v_and_or_b32 v12, 0xffe, v23, v12
	v_sub_nc_u32_e32 v23, 0x3f1, v25
	s_wait_alu 0xf1ff
	v_cndmask_b32_e64 v17, 0, 1, s0
	v_cmp_gt_i32_e64 s0, 31, v14
	v_add_nc_u32_e32 v25, 0xfffffc10, v25
	v_or_b32_e32 v28, 0x1000, v12
	v_med3_i32 v23, v23, 0, 13
	v_lshl_or_b32 v17, v17, 9, 0x7c00
	s_wait_alu 0xf1ff
	v_cndmask_b32_e64 v2, 0x7c00, v2, s0
	v_cmp_lt_i32_e64 s0, 5, v27
	v_lshrrev_b32_e32 v27, 16, v18
	v_lshrrev_b32_e32 v14, v23, v28
	s_delay_alu instid0(VALU_DEP_4) | instskip(NEXT) | instid1(VALU_DEP_4)
	v_cndmask_b32_e64 v2, v2, v17, s2
	s_or_b32 s0, s1, s0
	v_and_or_b32 v4, 0x1ff, v5, v4
	s_wait_alu 0xfffe
	v_add_co_ci_u32_e64 v8, s0, 0, v8, s0
	v_lshlrev_b32_e32 v17, v23, v14
	v_cmp_gt_i32_e64 s0, 31, v24
	v_bfe_u32 v29, v5, 20, 11
	v_and_or_b32 v2, 0x8000, v27, v2
	s_wait_alu 0xf1ff
	s_delay_alu instid0(VALU_DEP_3)
	v_cndmask_b32_e64 v23, 0x7c00, v8, s0
	v_cmp_ne_u32_e64 s0, v17, v28
	v_cvt_f32_f16_e32 v17, v7
	v_lshrrev_b32_e32 v28, 8, v5
	v_and_b32_e32 v2, 0xffff, v2
	v_mul_f64_e32 v[7:8], s[10:11], v[21:22]
	s_wait_alu 0xf1ff
	v_cndmask_b32_e64 v26, 0, 1, s0
	v_cmp_ne_u32_e64 s0, 0, v4
	v_cvt_f64_f32_e32 v[17:18], v17
	v_sub_nc_u32_e32 v21, 0x3f1, v29
	v_lshl_or_b32 v22, v25, 12, v12
	v_or_b32_e32 v14, v14, v26
	s_wait_alu 0xf1ff
	v_cndmask_b32_e64 v4, 0, 1, s0
	v_cmp_ne_u32_e64 s0, 0, v10
	v_med3_i32 v21, v21, 0, 13
	s_delay_alu instid0(VALU_DEP_3) | instskip(SKIP_1) | instid1(VALU_DEP_3)
	v_and_or_b32 v4, 0xffe, v28, v4
	s_wait_alu 0xf1ff
	v_cndmask_b32_e64 v10, 0, 1, s0
	v_cmp_gt_i32_e64 s0, 1, v25
	s_delay_alu instid0(VALU_DEP_3) | instskip(NEXT) | instid1(VALU_DEP_3)
	v_or_b32_e32 v26, 0x1000, v4
	v_lshl_or_b32 v10, v10, 9, 0x7c00
	s_wait_alu 0xf1ff
	s_delay_alu instid0(VALU_DEP_3) | instskip(SKIP_3) | instid1(VALU_DEP_2)
	v_cndmask_b32_e64 v14, v22, v14, s0
	v_cmp_eq_u32_e64 s0, 0x40f, v24
	v_lshrrev_b32_e32 v22, v21, v26
	s_wait_alu 0xf1ff
	v_cndmask_b32_e64 v10, v23, v10, s0
	v_and_b32_e32 v23, 7, v14
	s_delay_alu instid0(VALU_DEP_2) | instskip(SKIP_1) | instid1(VALU_DEP_3)
	v_and_or_b32 v0, 0x8000, v11, v10
	v_lshlrev_b32_e32 v10, v21, v22
	v_cmp_lt_i32_e64 s0, 5, v23
	v_cmp_eq_u32_e64 s1, 3, v23
	v_lshrrev_b32_e32 v11, 2, v14
	v_add_nc_u32_e32 v14, 0xfffffc10, v29
	v_cmp_ne_u32_e64 s2, v10, v26
	v_lshl_or_b32 v2, v0, 16, v2
	s_or_b32 s0, s1, s0
	v_and_or_b32 v7, 0x1ff, v8, v7
	s_wait_alu 0xfffe
	v_add_co_ci_u32_e64 v21, s0, 0, v11, s0
	v_cndmask_b32_e64 v10, 0, 1, s2
	v_cmp_ne_u32_e64 s0, 0, v12
	v_lshl_or_b32 v11, v14, 12, v4
	v_cmp_eq_u32_e64 s2, 0x40f, v25
	v_lshrrev_b32_e32 v24, 8, v8
	v_or_b32_e32 v10, v22, v10
	s_wait_alu 0xf1ff
	v_cndmask_b32_e64 v12, 0, 1, s0
	v_lshrrev_b32_e32 v22, 16, v6
	v_cmp_gt_i32_e64 s0, 1, v14
	v_bfe_u32 v26, v8, 20, 11
	v_lshrrev_b32_e32 v8, 16, v8
	v_lshl_or_b32 v12, v12, 9, 0x7c00
	s_wait_alu 0xf1ff
	v_cndmask_b32_e64 v23, v11, v10, s0
	v_mul_f64_e32 v[10:11], s[10:11], v[17:18]
	v_mul_f16_e32 v17, v66, v22
	v_cmp_gt_i32_e64 s0, 31, v25
	s_delay_alu instid0(VALU_DEP_4) | instskip(NEXT) | instid1(VALU_DEP_3)
	v_and_b32_e32 v18, 7, v23
	v_fmac_f16_e32 v17, v64, v6
	s_wait_alu 0xf1ff
	s_delay_alu instid0(VALU_DEP_3)
	v_cndmask_b32_e64 v21, 0x7c00, v21, s0
	v_cmp_ne_u32_e64 s0, 0, v7
	v_cmp_eq_u32_e64 s1, 3, v18
	v_mul_f16_e32 v6, v66, v6
	v_cvt_f32_f16_e32 v17, v17
	v_cndmask_b32_e64 v12, v21, v12, s2
	s_wait_alu 0xf1ff
	v_cndmask_b32_e64 v7, 0, 1, s0
	v_cmp_lt_i32_e64 s0, 5, v18
	v_lshrrev_b32_e32 v21, 2, v23
	v_cvt_f64_f32_e32 v[17:18], v17
	v_and_or_b32 v12, 0x8000, v13, v12
	v_and_or_b32 v24, 0xffe, v24, v7
	s_or_b32 s0, s1, s0
	v_sub_nc_u32_e32 v7, 0x3f1, v26
	s_wait_alu 0xfffe
	v_add_co_ci_u32_e64 v21, s0, 0, v21, s0
	v_cmp_ne_u32_e64 s0, 0, v4
	v_or_b32_e32 v23, 0x1000, v24
	v_med3_i32 v7, v7, 0, 13
	s_wait_alu 0xf1ff
	s_delay_alu instid0(VALU_DEP_3) | instskip(SKIP_1) | instid1(VALU_DEP_3)
	v_cndmask_b32_e64 v4, 0, 1, s0
	v_cmp_gt_i32_e64 s0, 31, v14
	v_lshrrev_b32_e32 v25, v7, v23
	s_delay_alu instid0(VALU_DEP_3) | instskip(SKIP_1) | instid1(VALU_DEP_3)
	v_lshl_or_b32 v4, v4, 9, 0x7c00
	s_wait_alu 0xf1ff
	v_cndmask_b32_e64 v21, 0x7c00, v21, s0
	v_cmp_eq_u32_e64 s0, 0x40f, v14
	v_lshlrev_b32_e32 v7, v7, v25
	v_add_nc_u32_e32 v14, 0xfffffc10, v26
	s_wait_alu 0xf1ff
	s_delay_alu instid0(VALU_DEP_3)
	v_cndmask_b32_e64 v13, v21, v4, s0
	v_fma_f16 v4, v64, v22, -v6
	v_and_or_b32 v6, 0x1ff, v11, v10
	v_cmp_ne_u32_e64 s0, v7, v23
	v_lshrrev_b32_e32 v22, 8, v11
	v_bfe_u32 v23, v11, 20, 11
	v_cvt_f32_f16_e32 v4, v4
	s_wait_alu 0xf1ff
	v_cndmask_b32_e64 v10, 0, 1, s0
	v_cmp_ne_u32_e64 s0, 0, v6
	s_delay_alu instid0(VALU_DEP_3) | instskip(NEXT) | instid1(VALU_DEP_3)
	v_cvt_f64_f32_e32 v[6:7], v4
	v_or_b32_e32 v4, v25, v10
	s_wait_alu 0xf1ff
	s_delay_alu instid0(VALU_DEP_3) | instskip(SKIP_3) | instid1(VALU_DEP_4)
	v_cndmask_b32_e64 v21, 0, 1, s0
	v_lshl_or_b32 v10, v14, 12, v24
	v_cmp_gt_i32_e64 s0, 1, v14
	v_lshrrev_b32_e32 v25, 16, v5
	v_and_or_b32 v21, 0xffe, v22, v21
	v_sub_nc_u32_e32 v22, 0x3f1, v23
	s_wait_alu 0xf1ff
	v_cndmask_b32_e64 v10, v10, v4, s0
	v_mul_f64_e32 v[4:5], s[10:11], v[17:18]
	v_and_or_b32 v0, 0x8000, v25, v13
	v_or_b32_e32 v17, 0x1000, v21
	v_med3_i32 v18, v22, 0, 13
	v_and_b32_e32 v22, 0xffff, v12
	v_and_b32_e32 v25, 7, v10
	v_add_co_u32 v12, s0, v19, s6
	s_delay_alu instid0(VALU_DEP_4) | instskip(NEXT) | instid1(VALU_DEP_4)
	v_lshrrev_b32_e32 v26, v18, v17
	v_lshl_or_b32 v22, v0, 16, v22
	s_wait_alu 0xf1ff
	v_add_co_ci_u32_e64 v13, s0, s7, v20, s0
	v_cmp_lt_i32_e64 s0, 5, v25
	v_lshlrev_b32_e32 v0, v18, v26
	v_cmp_eq_u32_e64 s1, 3, v25
	v_lshrrev_b32_e32 v25, 16, v1
	v_lshrrev_b32_e32 v10, 2, v10
	v_add_nc_u32_e32 v23, 0xfffffc10, v23
	v_cmp_ne_u32_e64 s2, v0, v17
	s_or_b32 s0, s1, s0
	v_mul_f16_e32 v17, v63, v25
	s_wait_alu 0xfffe
	v_add_co_ci_u32_e64 v10, s0, 0, v10, s0
	v_cndmask_b32_e64 v0, 0, 1, s2
	v_cmp_ne_u32_e64 s0, 0, v24
	v_fmac_f16_e32 v17, v62, v1
	v_lshl_or_b32 v18, v23, 12, v21
	v_mul_f64_e32 v[6:7], s[10:11], v[6:7]
	v_or_b32_e32 v0, v26, v0
	s_wait_alu 0xf1ff
	v_cndmask_b32_e64 v19, 0, 1, s0
	v_cmp_gt_i32_e64 s0, 1, v23
	v_cvt_f32_f16_e32 v17, v17
	s_delay_alu instid0(VALU_DEP_3) | instskip(SKIP_1) | instid1(VALU_DEP_3)
	v_lshl_or_b32 v24, v19, 9, 0x7c00
	s_wait_alu 0xf1ff
	v_cndmask_b32_e64 v0, v18, v0, s0
	v_cmp_gt_i32_e64 s0, 31, v14
	v_cvt_f64_f32_e32 v[17:18], v17
	v_and_or_b32 v4, 0x1ff, v5, v4
	s_delay_alu instid0(VALU_DEP_4)
	v_and_b32_e32 v26, 7, v0
	s_wait_alu 0xf1ff
	v_cndmask_b32_e64 v10, 0x7c00, v10, s0
	v_add_co_u32 v19, s0, v12, s6
	s_wait_alu 0xf1ff
	v_add_co_ci_u32_e64 v20, s0, s7, v13, s0
	v_cmp_eq_u32_e64 s0, 0x40f, v14
	v_cmp_ne_u32_e64 s1, 0, v4
	v_lshrrev_b32_e32 v0, 2, v0
	v_lshrrev_b32_e32 v14, 8, v5
	global_store_b32 v[12:13], v2, off
	global_store_b32 v[19:20], v22, off
	s_wait_alu 0xf1ff
	v_cndmask_b32_e64 v10, v10, v24, s0
	v_cmp_lt_i32_e64 s0, 5, v26
	v_cndmask_b32_e64 v4, 0, 1, s1
	v_cmp_eq_u32_e64 s1, 3, v26
	v_bfe_u32 v24, v5, 20, 11
	v_and_or_b32 v8, 0x8000, v8, v10
	v_lshrrev_b32_e32 v5, 16, v5
	v_and_or_b32 v4, 0xffe, v14, v4
	s_or_b32 s0, s1, s0
	v_sub_nc_u32_e32 v14, 0x3f1, v24
	s_wait_alu 0xfffe
	v_add_co_ci_u32_e64 v0, s0, 0, v0, s0
	v_cmp_ne_u32_e64 s0, 0, v21
	v_or_b32_e32 v26, 0x1000, v4
	v_med3_i32 v14, v14, 0, 13
	v_and_or_b32 v6, 0x1ff, v7, v6
	v_lshrrev_b32_e32 v27, 8, v7
	s_wait_alu 0xf1ff
	v_cndmask_b32_e64 v21, 0, 1, s0
	v_cmp_gt_i32_e64 s0, 31, v23
	v_lshrrev_b32_e32 v10, v14, v26
	v_bfe_u32 v28, v7, 20, 11
	v_add_nc_u32_e32 v24, 0xfffffc10, v24
	v_lshl_or_b32 v21, v21, 9, 0x7c00
	s_wait_alu 0xf1ff
	v_cndmask_b32_e64 v0, 0x7c00, v0, s0
	v_cmp_eq_u32_e64 s0, 0x40f, v23
	v_lshrrev_b32_e32 v23, 16, v11
	v_lshlrev_b32_e32 v11, v14, v10
	v_mul_f16_e32 v14, v63, v1
	v_and_b32_e32 v8, 0xffff, v8
	s_wait_alu 0xf1ff
	v_cndmask_b32_e64 v21, v0, v21, s0
	v_cmp_ne_u32_e64 s0, 0, v6
	v_mul_f64_e32 v[0:1], s[10:11], v[17:18]
	v_fma_f16 v14, v62, v25, -v14
	v_sub_nc_u32_e32 v17, 0x3f1, v28
	v_lshl_or_b32 v25, v24, 12, v4
	s_wait_alu 0xf1ff
	v_cndmask_b32_e64 v6, 0, 1, s0
	v_cmp_ne_u32_e64 s0, v11, v26
	v_cvt_f32_f16_e32 v14, v14
	v_cmp_eq_u32_e64 s2, 0x40f, v24
	v_lshrrev_b32_e32 v7, 16, v7
	v_and_or_b32 v6, 0xffe, v27, v6
	s_wait_alu 0xf1ff
	v_cndmask_b32_e64 v11, 0, 1, s0
	v_cmp_gt_i32_e64 s0, 1, v24
	s_delay_alu instid0(VALU_DEP_3) | instskip(NEXT) | instid1(VALU_DEP_3)
	v_or_b32_e32 v26, 0x1000, v6
	v_or_b32_e32 v18, v10, v11
	v_cvt_f64_f32_e32 v[10:11], v14
	v_med3_i32 v14, v17, 0, 13
	v_and_or_b32 v17, 0x8000, v23, v21
	s_wait_alu 0xf1ff
	v_cndmask_b32_e64 v18, v25, v18, s0
	v_add_co_u32 v12, s0, v19, s6
	v_lshrrev_b32_e32 v21, v14, v26
	v_lshl_or_b32 v22, v17, 16, v8
	s_delay_alu instid0(VALU_DEP_4)
	v_and_b32_e32 v2, 7, v18
	s_wait_alu 0xf1ff
	v_add_co_ci_u32_e64 v13, s0, s7, v20, s0
	v_lshlrev_b32_e32 v8, v14, v21
	v_lshrrev_b32_e32 v14, 16, v3
	v_cmp_lt_i32_e64 s0, 5, v2
	v_add_nc_u32_e32 v19, 0xfffffc10, v28
	s_delay_alu instid0(VALU_DEP_4) | instskip(NEXT) | instid1(VALU_DEP_4)
	v_cmp_ne_u32_e64 s1, v8, v26
	v_mul_f16_e32 v17, v61, v14
	s_wait_alu 0xf1ff
	s_delay_alu instid0(VALU_DEP_2)
	v_cndmask_b32_e64 v8, 0, 1, s1
	v_cmp_eq_u32_e64 s1, 3, v2
	v_lshrrev_b32_e32 v2, 2, v18
	v_lshl_or_b32 v18, v19, 12, v6
	v_and_or_b32 v0, 0x1ff, v1, v0
	v_or_b32_e32 v8, v21, v8
	s_or_b32 s0, s1, s0
	v_fmac_f16_e32 v17, v60, v3
	s_wait_alu 0xfffe
	v_add_co_ci_u32_e64 v2, s0, 0, v2, s0
	v_cmp_gt_i32_e64 s0, 1, v19
	v_lshrrev_b32_e32 v20, 8, v1
	v_cvt_f32_f16_e32 v17, v17
	v_bfe_u32 v21, v1, 20, 11
	v_lshrrev_b32_e32 v1, 16, v1
	s_wait_alu 0xf1ff
	v_cndmask_b32_e64 v8, v18, v8, s0
	v_cmp_ne_u32_e64 s0, 0, v0
	v_mul_f64_e32 v[10:11], s[10:11], v[10:11]
	v_cvt_f64_f32_e32 v[17:18], v17
	s_delay_alu instid0(VALU_DEP_4)
	v_and_b32_e32 v23, 7, v8
	s_wait_alu 0xf1ff
	v_cndmask_b32_e64 v0, 0, 1, s0
	v_cmp_ne_u32_e64 s0, 0, v4
	v_lshrrev_b32_e32 v8, 2, v8
	v_cmp_eq_u32_e64 s1, 3, v23
	s_delay_alu instid0(VALU_DEP_4)
	v_and_or_b32 v0, 0xffe, v20, v0
	s_wait_alu 0xf1ff
	v_cndmask_b32_e64 v4, 0, 1, s0
	v_cmp_gt_i32_e64 s0, 31, v24
	v_sub_nc_u32_e32 v20, 0x3f1, v21
	v_add_nc_u32_e32 v21, 0xfffffc10, v21
	v_or_b32_e32 v25, 0x1000, v0
	v_lshl_or_b32 v4, v4, 9, 0x7c00
	s_wait_alu 0xf1ff
	v_cndmask_b32_e64 v2, 0x7c00, v2, s0
	v_cmp_lt_i32_e64 s0, 5, v23
	v_med3_i32 v20, v20, 0, 13
	s_delay_alu instid0(VALU_DEP_3) | instskip(NEXT) | instid1(VALU_DEP_3)
	v_cndmask_b32_e64 v2, v2, v4, s2
	s_or_b32 s0, s1, s0
	s_delay_alu instid0(VALU_DEP_2)
	v_lshrrev_b32_e32 v4, v20, v25
	s_wait_alu 0xfffe
	v_add_co_ci_u32_e64 v8, s0, 0, v8, s0
	v_cmp_ne_u32_e64 s0, 0, v6
	v_and_or_b32 v23, 0x8000, v5, v2
	v_lshlrev_b32_e32 v20, v20, v4
	s_wait_alu 0xf1ff
	s_delay_alu instid0(VALU_DEP_3) | instskip(SKIP_1) | instid1(VALU_DEP_2)
	v_cndmask_b32_e64 v6, 0, 1, s0
	v_cmp_gt_i32_e64 s0, 31, v19
	v_lshl_or_b32 v6, v6, 9, 0x7c00
	s_wait_alu 0xf1ff
	s_delay_alu instid0(VALU_DEP_2) | instskip(SKIP_3) | instid1(VALU_DEP_2)
	v_cndmask_b32_e64 v8, 0x7c00, v8, s0
	v_cmp_ne_u32_e64 s0, v20, v25
	v_and_or_b32 v10, 0x1ff, v11, v10
	s_wait_alu 0xf1ff
	v_cndmask_b32_e64 v20, 0, 1, s0
	v_cmp_eq_u32_e64 s0, 0x40f, v19
	v_and_b32_e32 v19, 0xffff, v23
	s_delay_alu instid0(VALU_DEP_3) | instskip(SKIP_1) | instid1(VALU_DEP_3)
	v_or_b32_e32 v4, v4, v20
	s_wait_alu 0xf1ff
	v_cndmask_b32_e64 v5, v8, v6, s0
	v_mul_f16_e32 v6, v61, v3
	v_lshl_or_b32 v8, v21, 12, v0
	v_cmp_gt_i32_e64 s0, 1, v21
	v_mul_f64_e32 v[2:3], s[10:11], v[17:18]
	v_and_or_b32 v7, 0x8000, v7, v5
	v_fma_f16 v6, v60, v14, -v6
	v_bfe_u32 v14, v11, 20, 11
	s_wait_alu 0xf1ff
	v_cndmask_b32_e64 v8, v8, v4, s0
	v_cmp_ne_u32_e64 s0, 0, v10
	v_lshrrev_b32_e32 v18, 16, v9
	v_cvt_f32_f16_e32 v4, v6
	v_lshrrev_b32_e32 v6, 8, v11
	v_and_b32_e32 v17, 7, v8
	s_wait_alu 0xf1ff
	v_cndmask_b32_e64 v10, 0, 1, s0
	v_lshl_or_b32 v19, v7, 16, v19
	v_cvt_f64_f32_e32 v[4:5], v4
	v_lshrrev_b32_e32 v7, 2, v8
	v_cmp_lt_i32_e64 s0, 5, v17
	v_and_or_b32 v10, 0xffe, v6, v10
	v_sub_nc_u32_e32 v6, 0x3f1, v14
	v_cmp_eq_u32_e64 s1, 3, v17
	v_mul_f16_e32 v23, v59, v18
	v_add_nc_u32_e32 v14, 0xfffffc10, v14
	v_or_b32_e32 v20, 0x1000, v10
	v_med3_i32 v6, v6, 0, 13
	s_or_b32 s0, s1, s0
	v_fmac_f16_e32 v23, v58, v9
	s_wait_alu 0xfffe
	v_add_co_ci_u32_e64 v7, s0, 0, v7, s0
	v_lshrrev_b32_e32 v8, v6, v20
	v_cmp_ne_u32_e64 s0, 0, v0
	v_mul_f16_e32 v9, v59, v9
	v_lshrrev_b32_e32 v11, 16, v11
	s_delay_alu instid0(VALU_DEP_4)
	v_lshlrev_b32_e32 v17, v6, v8
	s_wait_alu 0xf1ff
	v_cndmask_b32_e64 v0, 0, 1, s0
	v_cvt_f32_f16_e32 v6, v23
	v_cmp_gt_i32_e64 s0, 31, v21
	v_fma_f16 v9, v58, v18, -v9
	s_delay_alu instid0(VALU_DEP_4)
	v_lshl_or_b32 v0, v0, 9, 0x7c00
	v_and_or_b32 v2, 0x1ff, v3, v2
	s_wait_alu 0xf1ff
	v_cndmask_b32_e64 v23, 0x7c00, v7, s0
	v_cvt_f64_f32_e32 v[6:7], v6
	v_cmp_ne_u32_e64 s0, v17, v20
	v_lshrrev_b32_e32 v20, 8, v3
	v_bfe_u32 v24, v3, 20, 11
	v_cvt_f32_f16_e32 v9, v9
	v_lshrrev_b32_e32 v3, 16, v3
	s_wait_alu 0xf1ff
	v_cndmask_b32_e64 v17, 0, 1, s0
	v_cmp_ne_u32_e64 s0, 0, v2
	v_sub_nc_u32_e32 v18, 0x3f1, v24
	v_add_nc_u32_e32 v24, 0xfffffc10, v24
	v_mul_f64_e32 v[4:5], s[10:11], v[4:5]
	v_or_b32_e32 v8, v8, v17
	s_wait_alu 0xf1ff
	v_cndmask_b32_e64 v2, 0, 1, s0
	v_lshl_or_b32 v17, v14, 12, v10
	v_cmp_gt_i32_e64 s0, 1, v14
	v_med3_i32 v26, v18, 0, 13
	s_delay_alu instid0(VALU_DEP_4) | instskip(SKIP_1) | instid1(VALU_DEP_3)
	v_and_or_b32 v2, 0xffe, v20, v2
	s_wait_alu 0xf1ff
	v_cndmask_b32_e64 v20, v17, v8, s0
	v_cmp_eq_u32_e64 s0, 0x40f, v21
	v_cvt_f64_f32_e32 v[8:9], v9
	v_or_b32_e32 v25, 0x1000, v2
	s_delay_alu instid0(VALU_DEP_4)
	v_and_b32_e32 v21, 7, v20
	s_wait_alu 0xf1ff
	v_cndmask_b32_e64 v0, v23, v0, s0
	v_add_co_u32 v17, s0, v12, s6
	v_lshrrev_b32_e32 v23, v26, v25
	s_wait_alu 0xf1ff
	v_add_co_ci_u32_e64 v18, s0, s7, v13, s0
	v_cmp_lt_i32_e64 s0, 5, v21
	v_cmp_eq_u32_e64 s1, 3, v21
	v_lshrrev_b32_e32 v20, 2, v20
	v_lshlrev_b32_e32 v26, v26, v23
	v_and_or_b32 v27, 0x8000, v1, v0
	s_delay_alu instid0(VALU_DEP_4)
	s_or_b32 s0, s1, s0
	v_mul_f64_e32 v[0:1], s[10:11], v[6:7]
	s_wait_alu 0xfffe
	v_add_co_ci_u32_e64 v6, s0, 0, v20, s0
	v_cmp_ne_u32_e64 s2, v26, v25
	v_cmp_ne_u32_e64 s0, 0, v10
	v_lshl_or_b32 v20, v24, 12, v2
	s_wait_alu 0xf1ff
	s_delay_alu instid0(VALU_DEP_3) | instskip(NEXT) | instid1(VALU_DEP_3)
	v_cndmask_b32_e64 v21, 0, 1, s2
	v_cndmask_b32_e64 v7, 0, 1, s0
	v_cmp_gt_i32_e64 s0, 31, v14
	v_and_or_b32 v4, 0x1ff, v5, v4
	s_delay_alu instid0(VALU_DEP_4) | instskip(NEXT) | instid1(VALU_DEP_4)
	v_or_b32_e32 v10, v23, v21
	v_lshl_or_b32 v7, v7, 9, 0x7c00
	s_wait_alu 0xf1ff
	v_cndmask_b32_e64 v6, 0x7c00, v6, s0
	v_cmp_gt_i32_e64 s0, 1, v24
	v_lshrrev_b32_e32 v21, 8, v5
	s_wait_alu 0xf1ff
	s_delay_alu instid0(VALU_DEP_2) | instskip(SKIP_1) | instid1(VALU_DEP_2)
	v_cndmask_b32_e64 v10, v20, v10, s0
	v_cmp_eq_u32_e64 s0, 0x40f, v14
	v_and_b32_e32 v20, 7, v10
	s_wait_alu 0xf1ff
	s_delay_alu instid0(VALU_DEP_2)
	v_cndmask_b32_e64 v14, v6, v7, s0
	v_cmp_ne_u32_e64 s0, 0, v4
	v_mul_f64_e32 v[6:7], s[10:11], v[8:9]
	v_bfe_u32 v8, v5, 20, 11
	v_cmp_eq_u32_e64 s1, 3, v20
	v_lshrrev_b32_e32 v10, 2, v10
	s_wait_alu 0xf1ff
	v_cndmask_b32_e64 v4, 0, 1, s0
	v_cmp_lt_i32_e64 s0, 5, v20
	v_and_or_b32 v9, 0x8000, v11, v14
	v_and_b32_e32 v11, 0xffff, v27
	v_sub_nc_u32_e32 v14, 0x3f1, v8
	v_and_or_b32 v4, 0xffe, v21, v4
	s_or_b32 s0, s1, s0
	v_and_or_b32 v0, 0x1ff, v1, v0
	s_wait_alu 0xfffe
	v_add_co_ci_u32_e64 v10, s0, 0, v10, s0
	v_lshl_or_b32 v9, v9, 16, v11
	v_or_b32_e32 v11, 0x1000, v4
	v_med3_i32 v14, v14, 0, 13
	v_cmp_ne_u32_e64 s0, 0, v2
	v_lshrrev_b32_e32 v21, 8, v1
	v_bfe_u32 v23, v1, 20, 11
	v_add_nc_u32_e32 v8, 0xfffffc10, v8
	v_lshrrev_b32_e32 v20, v14, v11
	s_wait_alu 0xf1ff
	v_cndmask_b32_e64 v2, 0, 1, s0
	v_cmp_gt_i32_e64 s0, 31, v24
	v_lshrrev_b32_e32 v5, 16, v5
	v_lshrrev_b32_e32 v1, 16, v1
	v_lshlrev_b32_e32 v14, v14, v20
	v_lshl_or_b32 v2, v2, 9, 0x7c00
	s_wait_alu 0xf1ff
	v_cndmask_b32_e64 v10, 0x7c00, v10, s0
	v_cmp_ne_u32_e64 s0, 0, v0
	s_wait_alu 0xf1ff
	s_delay_alu instid0(VALU_DEP_1) | instskip(SKIP_3) | instid1(VALU_DEP_4)
	v_cndmask_b32_e64 v0, 0, 1, s0
	v_cmp_ne_u32_e64 s0, v14, v11
	v_sub_nc_u32_e32 v14, 0x3f1, v23
	v_and_or_b32 v6, 0x1ff, v7, v6
	v_and_or_b32 v0, 0xffe, v21, v0
	s_wait_alu 0xf1ff
	v_cndmask_b32_e64 v11, 0, 1, s0
	v_cmp_eq_u32_e64 s0, 0x40f, v24
	v_med3_i32 v14, v14, 0, 13
	v_lshrrev_b32_e32 v21, 8, v7
	v_bfe_u32 v24, v7, 20, 11
	s_wait_alu 0xf1ff
	v_cndmask_b32_e64 v2, v10, v2, s0
	v_or_b32_e32 v10, v20, v11
	v_lshl_or_b32 v11, v8, 12, v4
	v_or_b32_e32 v20, 0x1000, v0
	v_cmp_gt_i32_e64 s0, 1, v8
	v_and_or_b32 v2, 0x8000, v3, v2
	s_wait_alu 0xf1ff
	s_delay_alu instid0(VALU_DEP_2) | instskip(SKIP_2) | instid1(VALU_DEP_3)
	v_cndmask_b32_e64 v10, v11, v10, s0
	v_lshrrev_b32_e32 v11, v14, v20
	v_cmp_ne_u32_e64 s0, 0, v6
	v_and_b32_e32 v25, 7, v10
	s_delay_alu instid0(VALU_DEP_3) | instskip(SKIP_1) | instid1(VALU_DEP_3)
	v_lshlrev_b32_e32 v14, v14, v11
	s_wait_alu 0xf1ff
	v_cndmask_b32_e64 v6, 0, 1, s0
	v_lshrrev_b32_e32 v10, 2, v10
	v_cmp_lt_i32_e64 s0, 5, v25
	v_cmp_ne_u32_e64 s1, v14, v20
	s_delay_alu instid0(VALU_DEP_4)
	v_and_or_b32 v3, 0xffe, v21, v6
	v_sub_nc_u32_e32 v6, 0x3f1, v24
	v_add_nc_u32_e32 v21, 0xfffffc10, v23
	s_wait_alu 0xf1ff
	v_cndmask_b32_e64 v14, 0, 1, s1
	v_cmp_eq_u32_e64 s1, 3, v25
	v_or_b32_e32 v20, 0x1000, v3
	v_med3_i32 v6, v6, 0, 13
	v_lshl_or_b32 v23, v21, 12, v0
	v_or_b32_e32 v11, v11, v14
	s_or_b32 s0, s1, s0
	s_wait_alu 0xfffe
	v_add_co_ci_u32_e64 v10, s0, 0, v10, s0
	v_lshrrev_b32_e32 v14, v6, v20
	v_cmp_gt_i32_e64 s0, 1, v21
	s_delay_alu instid0(VALU_DEP_2) | instskip(SKIP_1) | instid1(VALU_DEP_2)
	v_lshlrev_b32_e32 v6, v6, v14
	s_wait_alu 0xf1ff
	v_cndmask_b32_e64 v11, v23, v11, s0
	v_cmp_ne_u32_e64 s0, 0, v4
	s_delay_alu instid0(VALU_DEP_2) | instskip(SKIP_1) | instid1(VALU_DEP_2)
	v_and_b32_e32 v23, 7, v11
	s_wait_alu 0xf1ff
	v_cndmask_b32_e64 v4, 0, 1, s0
	v_cmp_ne_u32_e64 s0, v6, v20
	v_add_nc_u32_e32 v20, 0xfffffc10, v24
	v_cmp_eq_u32_e64 s1, 3, v23
	s_delay_alu instid0(VALU_DEP_4) | instskip(SKIP_4) | instid1(VALU_DEP_3)
	v_lshl_or_b32 v4, v4, 9, 0x7c00
	s_wait_alu 0xf1ff
	v_cndmask_b32_e64 v6, 0, 1, s0
	v_cmp_gt_i32_e64 s0, 31, v8
	v_cmp_gt_i32_e64 s2, 1, v20
	v_or_b32_e32 v6, v14, v6
	v_lshl_or_b32 v14, v20, 12, v3
	s_wait_alu 0xf1ff
	v_cndmask_b32_e64 v10, 0x7c00, v10, s0
	v_cmp_lt_i32_e64 s0, 5, v23
	s_delay_alu instid0(VALU_DEP_3) | instskip(SKIP_2) | instid1(VALU_DEP_4)
	v_cndmask_b32_e64 v6, v14, v6, s2
	v_cmp_eq_u32_e64 s2, 0x40f, v8
	v_lshrrev_b32_e32 v8, 2, v11
	s_or_b32 s0, s1, s0
	s_delay_alu instid0(VALU_DEP_2) | instskip(SKIP_1) | instid1(VALU_DEP_2)
	v_cndmask_b32_e64 v4, v10, v4, s2
	s_wait_alu 0xfffe
	v_add_co_ci_u32_e64 v8, s0, 0, v8, s0
	v_and_b32_e32 v10, 7, v6
	v_cmp_ne_u32_e64 s0, 0, v0
	v_lshrrev_b32_e32 v6, 2, v6
	v_cmp_gt_i32_e64 s2, 31, v21
	v_and_or_b32 v4, 0x8000, v5, v4
	v_cmp_eq_u32_e64 s1, 3, v10
	s_wait_alu 0xf1ff
	v_cndmask_b32_e64 v0, 0, 1, s0
	v_cmp_lt_i32_e64 s0, 5, v10
	v_cndmask_b32_e64 v8, 0x7c00, v8, s2
	v_and_b32_e32 v5, 0xffff, v2
	s_delay_alu instid0(VALU_DEP_4) | instskip(NEXT) | instid1(VALU_DEP_4)
	v_lshl_or_b32 v0, v0, 9, 0x7c00
	s_or_b32 s0, s1, s0
	s_wait_alu 0xfffe
	v_add_co_ci_u32_e64 v6, s0, 0, v6, s0
	v_cmp_ne_u32_e64 s0, 0, v3
	s_wait_alu 0xf1ff
	s_delay_alu instid0(VALU_DEP_1) | instskip(SKIP_1) | instid1(VALU_DEP_2)
	v_cndmask_b32_e64 v3, 0, 1, s0
	v_cmp_eq_u32_e64 s0, 0x40f, v21
	v_lshl_or_b32 v3, v3, 9, 0x7c00
	s_wait_alu 0xf1ff
	s_delay_alu instid0(VALU_DEP_2) | instskip(SKIP_1) | instid1(VALU_DEP_2)
	v_cndmask_b32_e64 v0, v8, v0, s0
	v_cmp_gt_i32_e64 s0, 31, v20
	v_and_or_b32 v0, 0x8000, v1, v0
	s_wait_alu 0xf1ff
	s_delay_alu instid0(VALU_DEP_2) | instskip(SKIP_1) | instid1(VALU_DEP_3)
	v_cndmask_b32_e64 v6, 0x7c00, v6, s0
	v_cmp_eq_u32_e64 s0, 0x40f, v20
	v_and_b32_e32 v0, 0xffff, v0
	s_wait_alu 0xf1ff
	s_delay_alu instid0(VALU_DEP_2)
	v_cndmask_b32_e64 v1, v6, v3, s0
	v_lshrrev_b32_e32 v6, 16, v7
	v_add_co_u32 v2, s0, v17, s6
	s_wait_alu 0xf1ff
	v_add_co_ci_u32_e64 v3, s0, s7, v18, s0
	v_lshl_or_b32 v7, v4, 16, v5
	v_and_or_b32 v1, 0x8000, v6, v1
	v_add_co_u32 v4, s0, v2, s6
	s_wait_alu 0xf1ff
	v_add_co_ci_u32_e64 v5, s0, s7, v3, s0
	s_delay_alu instid0(VALU_DEP_3) | instskip(NEXT) | instid1(VALU_DEP_3)
	v_lshl_or_b32 v6, v1, 16, v0
	v_add_co_u32 v0, s0, v4, s6
	s_wait_alu 0xf1ff
	s_delay_alu instid0(VALU_DEP_3)
	v_add_co_ci_u32_e64 v1, s0, s7, v5, s0
	global_store_b32 v[12:13], v22, off
	global_store_b32 v[17:18], v19, off
	;; [unrolled: 1-line block ×5, first 2 shown]
	s_and_b32 exec_lo, exec_lo, vcc_lo
	s_cbranch_execz .LBB0_25
; %bb.24:
	global_load_b32 v3, v[15:16], off offset:1792
	ds_load_b32 v4, v57 offset:1792
	ds_load_b32 v5, v57 offset:4144
	;; [unrolled: 1-line block ×8, first 2 shown]
	s_wait_dscnt 0x7
	v_lshrrev_b32_e32 v11, 16, v4
	s_wait_loadcnt 0x0
	v_lshrrev_b32_e32 v12, 16, v3
	s_delay_alu instid0(VALU_DEP_1) | instskip(SKIP_1) | instid1(VALU_DEP_2)
	v_mul_f16_e32 v13, v11, v12
	v_mul_f16_e32 v12, v4, v12
	v_fmac_f16_e32 v13, v4, v3
	s_delay_alu instid0(VALU_DEP_2) | instskip(NEXT) | instid1(VALU_DEP_2)
	v_fma_f16 v3, v3, v11, -v12
	v_cvt_f32_f16_e32 v4, v13
	s_delay_alu instid0(VALU_DEP_2) | instskip(NEXT) | instid1(VALU_DEP_2)
	v_cvt_f32_f16_e32 v11, v3
	v_cvt_f64_f32_e32 v[3:4], v4
	s_delay_alu instid0(VALU_DEP_2) | instskip(NEXT) | instid1(VALU_DEP_2)
	v_cvt_f64_f32_e32 v[11:12], v11
	v_mul_f64_e32 v[3:4], s[10:11], v[3:4]
	s_delay_alu instid0(VALU_DEP_2) | instskip(NEXT) | instid1(VALU_DEP_2)
	v_mul_f64_e32 v[11:12], s[10:11], v[11:12]
	v_and_or_b32 v3, 0x1ff, v4, v3
	s_delay_alu instid0(VALU_DEP_2)
	v_and_or_b32 v11, 0x1ff, v12, v11
	v_lshrrev_b32_e32 v13, 8, v4
	v_bfe_u32 v14, v4, 20, 11
	v_lshrrev_b32_e32 v17, 8, v12
	v_cmp_ne_u32_e32 vcc_lo, 0, v3
	v_bfe_u32 v18, v12, 20, 11
	v_lshrrev_b32_e32 v4, 16, v4
	v_sub_nc_u32_e32 v19, 0x3f1, v14
	v_lshrrev_b32_e32 v12, 16, v12
	s_wait_alu 0xfffd
	v_cndmask_b32_e64 v3, 0, 1, vcc_lo
	v_cmp_ne_u32_e32 vcc_lo, 0, v11
	s_delay_alu instid0(VALU_DEP_2) | instskip(SKIP_3) | instid1(VALU_DEP_2)
	v_and_or_b32 v3, 0xffe, v13, v3
	s_wait_alu 0xfffd
	v_cndmask_b32_e64 v11, 0, 1, vcc_lo
	v_sub_nc_u32_e32 v13, 0x3f1, v18
	v_and_or_b32 v11, 0xffe, v17, v11
	v_med3_i32 v17, v19, 0, 13
	v_or_b32_e32 v19, 0x1000, v3
	s_delay_alu instid0(VALU_DEP_4) | instskip(NEXT) | instid1(VALU_DEP_4)
	v_med3_i32 v13, v13, 0, 13
	v_or_b32_e32 v20, 0x1000, v11
	s_delay_alu instid0(VALU_DEP_3) | instskip(NEXT) | instid1(VALU_DEP_2)
	v_lshrrev_b32_e32 v21, v17, v19
	v_lshrrev_b32_e32 v22, v13, v20
	s_delay_alu instid0(VALU_DEP_2) | instskip(NEXT) | instid1(VALU_DEP_2)
	v_lshlrev_b32_e32 v17, v17, v21
	v_lshlrev_b32_e32 v13, v13, v22
	s_delay_alu instid0(VALU_DEP_2) | instskip(SKIP_2) | instid1(VALU_DEP_3)
	v_cmp_ne_u32_e32 vcc_lo, v17, v19
	s_wait_alu 0xfffd
	v_cndmask_b32_e64 v17, 0, 1, vcc_lo
	v_cmp_ne_u32_e32 vcc_lo, v13, v20
	s_delay_alu instid0(VALU_DEP_2) | instskip(SKIP_3) | instid1(VALU_DEP_2)
	v_or_b32_e32 v17, v21, v17
	v_add_nc_u32_e32 v14, 0xfffffc10, v14
	s_wait_alu 0xfffd
	v_cndmask_b32_e64 v13, 0, 1, vcc_lo
	v_lshl_or_b32 v19, v14, 12, v3
	s_delay_alu instid0(VALU_DEP_2) | instskip(SKIP_2) | instid1(VALU_DEP_2)
	v_or_b32_e32 v13, v22, v13
	v_add_nc_u32_e32 v18, 0xfffffc10, v18
	v_cmp_gt_i32_e32 vcc_lo, 1, v14
	v_lshl_or_b32 v20, v18, 12, v11
	s_wait_alu 0xfffd
	v_cndmask_b32_e32 v17, v19, v17, vcc_lo
	v_cmp_gt_i32_e32 vcc_lo, 1, v18
	s_delay_alu instid0(VALU_DEP_2)
	v_and_b32_e32 v19, 7, v17
	s_wait_alu 0xfffd
	v_cndmask_b32_e32 v13, v20, v13, vcc_lo
	v_cmp_ne_u32_e32 vcc_lo, 0, v3
	v_lshrrev_b32_e32 v17, 2, v17
	v_cmp_eq_u32_e64 s0, 3, v19
	s_wait_alu 0xfffd
	v_cndmask_b32_e64 v3, 0, 1, vcc_lo
	v_cmp_ne_u32_e32 vcc_lo, 0, v11
	s_delay_alu instid0(VALU_DEP_2)
	v_lshl_or_b32 v3, v3, 9, 0x7c00
	v_and_b32_e32 v20, 7, v13
	s_wait_alu 0xfffd
	v_cndmask_b32_e64 v11, 0, 1, vcc_lo
	v_cmp_lt_i32_e32 vcc_lo, 5, v19
	v_lshrrev_b32_e32 v13, 2, v13
	v_cmp_lt_i32_e64 s1, 5, v20
	v_cmp_eq_u32_e64 s2, 3, v20
	s_or_b32 vcc_lo, s0, vcc_lo
	v_lshl_or_b32 v11, v11, 9, 0x7c00
	s_wait_alu 0xfffe
	v_add_co_ci_u32_e32 v17, vcc_lo, 0, v17, vcc_lo
	s_or_b32 vcc_lo, s2, s1
	s_wait_alu 0xfffe
	v_add_co_ci_u32_e32 v13, vcc_lo, 0, v13, vcc_lo
	v_cmp_gt_i32_e32 vcc_lo, 31, v14
	s_wait_alu 0xfffd
	v_cndmask_b32_e32 v17, 0x7c00, v17, vcc_lo
	v_cmp_gt_i32_e32 vcc_lo, 31, v18
	s_wait_alu 0xfffd
	v_cndmask_b32_e32 v13, 0x7c00, v13, vcc_lo
	v_cmp_eq_u32_e32 vcc_lo, 0x40f, v14
	s_wait_alu 0xfffd
	v_cndmask_b32_e32 v3, v17, v3, vcc_lo
	v_cmp_eq_u32_e32 vcc_lo, 0x40f, v18
	s_delay_alu instid0(VALU_DEP_2)
	v_and_or_b32 v3, 0x8000, v4, v3
	s_wait_alu 0xfffd
	v_cndmask_b32_e32 v11, v13, v11, vcc_lo
	v_add_co_u32 v0, vcc_lo, v0, s4
	s_wait_alu 0xfffd
	v_add_co_ci_u32_e32 v1, vcc_lo, s5, v1, vcc_lo
	s_delay_alu instid0(VALU_DEP_3) | instskip(SKIP_1) | instid1(VALU_DEP_1)
	v_and_or_b32 v4, 0x8000, v12, v11
	v_and_b32_e32 v3, 0xffff, v3
	v_lshl_or_b32 v3, v4, 16, v3
	s_wait_dscnt 0x6
	v_lshrrev_b32_e32 v4, 16, v5
	global_store_b32 v[0:1], v3, off
	global_load_b32 v3, v[15:16], off offset:4144
	s_wait_loadcnt 0x0
	v_lshrrev_b32_e32 v11, 16, v3
	s_delay_alu instid0(VALU_DEP_1) | instskip(SKIP_1) | instid1(VALU_DEP_2)
	v_mul_f16_e32 v12, v4, v11
	v_mul_f16_e32 v11, v5, v11
	v_fmac_f16_e32 v12, v5, v3
	s_delay_alu instid0(VALU_DEP_2) | instskip(NEXT) | instid1(VALU_DEP_2)
	v_fma_f16 v3, v3, v4, -v11
	v_cvt_f32_f16_e32 v4, v12
	s_delay_alu instid0(VALU_DEP_2) | instskip(NEXT) | instid1(VALU_DEP_2)
	v_cvt_f32_f16_e32 v5, v3
	v_cvt_f64_f32_e32 v[3:4], v4
	s_delay_alu instid0(VALU_DEP_2) | instskip(NEXT) | instid1(VALU_DEP_2)
	v_cvt_f64_f32_e32 v[11:12], v5
	v_mul_f64_e32 v[3:4], s[10:11], v[3:4]
	s_delay_alu instid0(VALU_DEP_2) | instskip(NEXT) | instid1(VALU_DEP_2)
	v_mul_f64_e32 v[11:12], s[10:11], v[11:12]
	v_and_or_b32 v3, 0x1ff, v4, v3
	s_delay_alu instid0(VALU_DEP_2)
	v_and_or_b32 v11, 0x1ff, v12, v11
	v_lshrrev_b32_e32 v5, 8, v4
	v_bfe_u32 v13, v4, 20, 11
	v_lshrrev_b32_e32 v14, 8, v12
	v_cmp_ne_u32_e32 vcc_lo, 0, v3
	v_bfe_u32 v17, v12, 20, 11
	v_lshrrev_b32_e32 v4, 16, v4
	v_sub_nc_u32_e32 v18, 0x3f1, v13
	v_add_nc_u32_e32 v13, 0xfffffc10, v13
	s_wait_alu 0xfffd
	v_cndmask_b32_e64 v3, 0, 1, vcc_lo
	v_cmp_ne_u32_e32 vcc_lo, 0, v11
	v_lshrrev_b32_e32 v12, 16, v12
	s_delay_alu instid0(VALU_DEP_3) | instskip(SKIP_4) | instid1(VALU_DEP_3)
	v_and_or_b32 v3, 0xffe, v5, v3
	s_wait_alu 0xfffd
	v_cndmask_b32_e64 v11, 0, 1, vcc_lo
	v_sub_nc_u32_e32 v5, 0x3f1, v17
	v_add_nc_u32_e32 v17, 0xfffffc10, v17
	v_and_or_b32 v11, 0xffe, v14, v11
	v_med3_i32 v14, v18, 0, 13
	v_or_b32_e32 v18, 0x1000, v3
	v_med3_i32 v5, v5, 0, 13
	s_delay_alu instid0(VALU_DEP_4) | instskip(NEXT) | instid1(VALU_DEP_3)
	v_or_b32_e32 v19, 0x1000, v11
	v_lshrrev_b32_e32 v20, v14, v18
	s_delay_alu instid0(VALU_DEP_2) | instskip(NEXT) | instid1(VALU_DEP_2)
	v_lshrrev_b32_e32 v21, v5, v19
	v_lshlrev_b32_e32 v14, v14, v20
	s_delay_alu instid0(VALU_DEP_2) | instskip(NEXT) | instid1(VALU_DEP_2)
	v_lshlrev_b32_e32 v5, v5, v21
	v_cmp_ne_u32_e32 vcc_lo, v14, v18
	v_lshl_or_b32 v18, v13, 12, v3
	s_wait_alu 0xfffd
	v_cndmask_b32_e64 v14, 0, 1, vcc_lo
	v_cmp_ne_u32_e32 vcc_lo, v5, v19
	v_lshl_or_b32 v19, v17, 12, v11
	s_delay_alu instid0(VALU_DEP_3) | instskip(SKIP_3) | instid1(VALU_DEP_2)
	v_or_b32_e32 v14, v20, v14
	s_wait_alu 0xfffd
	v_cndmask_b32_e64 v5, 0, 1, vcc_lo
	v_cmp_gt_i32_e32 vcc_lo, 1, v13
	v_or_b32_e32 v5, v21, v5
	s_wait_alu 0xfffd
	v_cndmask_b32_e32 v14, v18, v14, vcc_lo
	v_cmp_gt_i32_e32 vcc_lo, 1, v17
	s_wait_alu 0xfffd
	s_delay_alu instid0(VALU_DEP_2) | instskip(SKIP_2) | instid1(VALU_DEP_3)
	v_dual_cndmask_b32 v5, v19, v5 :: v_dual_and_b32 v18, 7, v14
	v_cmp_ne_u32_e32 vcc_lo, 0, v3
	v_lshrrev_b32_e32 v14, 2, v14
	v_cmp_eq_u32_e64 s0, 3, v18
	s_delay_alu instid0(VALU_DEP_4)
	v_and_b32_e32 v19, 7, v5
	s_wait_alu 0xfffd
	v_cndmask_b32_e64 v3, 0, 1, vcc_lo
	v_cmp_ne_u32_e32 vcc_lo, 0, v11
	v_lshrrev_b32_e32 v5, 2, v5
	v_cmp_lt_i32_e64 s1, 5, v19
	v_cmp_eq_u32_e64 s2, 3, v19
	s_wait_alu 0xfffd
	v_cndmask_b32_e64 v11, 0, 1, vcc_lo
	v_cmp_lt_i32_e32 vcc_lo, 5, v18
	v_lshl_or_b32 v3, v3, 9, 0x7c00
	s_delay_alu instid0(VALU_DEP_3)
	v_lshl_or_b32 v11, v11, 9, 0x7c00
	s_or_b32 vcc_lo, s0, vcc_lo
	s_wait_alu 0xfffe
	v_add_co_ci_u32_e32 v14, vcc_lo, 0, v14, vcc_lo
	s_or_b32 vcc_lo, s2, s1
	s_wait_alu 0xfffe
	v_add_co_ci_u32_e32 v5, vcc_lo, 0, v5, vcc_lo
	v_cmp_gt_i32_e32 vcc_lo, 31, v13
	s_wait_alu 0xfffd
	v_cndmask_b32_e32 v14, 0x7c00, v14, vcc_lo
	v_cmp_gt_i32_e32 vcc_lo, 31, v17
	s_wait_alu 0xfffd
	v_cndmask_b32_e32 v5, 0x7c00, v5, vcc_lo
	v_cmp_eq_u32_e32 vcc_lo, 0x40f, v13
	s_wait_alu 0xfffd
	v_cndmask_b32_e32 v3, v14, v3, vcc_lo
	v_cmp_eq_u32_e32 vcc_lo, 0x40f, v17
	s_delay_alu instid0(VALU_DEP_2)
	v_and_or_b32 v3, 0x8000, v4, v3
	s_wait_alu 0xfffd
	v_cndmask_b32_e32 v5, v5, v11, vcc_lo
	v_add_co_u32 v0, vcc_lo, v0, s6
	s_wait_alu 0xfffd
	v_add_co_ci_u32_e32 v1, vcc_lo, s7, v1, vcc_lo
	s_delay_alu instid0(VALU_DEP_3) | instskip(SKIP_1) | instid1(VALU_DEP_1)
	v_and_or_b32 v4, 0x8000, v12, v5
	v_and_b32_e32 v3, 0xffff, v3
	v_lshl_or_b32 v3, v4, 16, v3
	s_wait_dscnt 0x5
	v_lshrrev_b32_e32 v4, 16, v6
	global_store_b32 v[0:1], v3, off
	global_load_b32 v3, v[15:16], off offset:6496
	s_wait_loadcnt 0x0
	v_lshrrev_b32_e32 v5, 16, v3
	s_delay_alu instid0(VALU_DEP_1) | instskip(SKIP_1) | instid1(VALU_DEP_2)
	v_mul_f16_e32 v11, v4, v5
	v_mul_f16_e32 v5, v6, v5
	v_fmac_f16_e32 v11, v6, v3
	s_delay_alu instid0(VALU_DEP_2) | instskip(NEXT) | instid1(VALU_DEP_2)
	v_fma_f16 v3, v3, v4, -v5
	v_cvt_f32_f16_e32 v4, v11
	s_delay_alu instid0(VALU_DEP_2) | instskip(NEXT) | instid1(VALU_DEP_2)
	v_cvt_f32_f16_e32 v5, v3
	v_cvt_f64_f32_e32 v[3:4], v4
	s_delay_alu instid0(VALU_DEP_2) | instskip(NEXT) | instid1(VALU_DEP_2)
	v_cvt_f64_f32_e32 v[5:6], v5
	v_mul_f64_e32 v[3:4], s[10:11], v[3:4]
	s_delay_alu instid0(VALU_DEP_2) | instskip(NEXT) | instid1(VALU_DEP_2)
	v_mul_f64_e32 v[5:6], s[10:11], v[5:6]
	v_and_or_b32 v3, 0x1ff, v4, v3
	s_delay_alu instid0(VALU_DEP_2)
	v_and_or_b32 v5, 0x1ff, v6, v5
	v_lshrrev_b32_e32 v11, 8, v4
	v_bfe_u32 v12, v4, 20, 11
	v_lshrrev_b32_e32 v13, 8, v6
	v_cmp_ne_u32_e32 vcc_lo, 0, v3
	v_bfe_u32 v14, v6, 20, 11
	v_lshrrev_b32_e32 v4, 16, v4
	v_sub_nc_u32_e32 v17, 0x3f1, v12
	v_add_nc_u32_e32 v12, 0xfffffc10, v12
	s_wait_alu 0xfffd
	v_cndmask_b32_e64 v3, 0, 1, vcc_lo
	v_cmp_ne_u32_e32 vcc_lo, 0, v5
	v_lshrrev_b32_e32 v6, 16, v6
	s_delay_alu instid0(VALU_DEP_3) | instskip(SKIP_4) | instid1(VALU_DEP_3)
	v_and_or_b32 v3, 0xffe, v11, v3
	s_wait_alu 0xfffd
	v_cndmask_b32_e64 v5, 0, 1, vcc_lo
	v_sub_nc_u32_e32 v11, 0x3f1, v14
	v_add_nc_u32_e32 v14, 0xfffffc10, v14
	v_and_or_b32 v5, 0xffe, v13, v5
	v_med3_i32 v13, v17, 0, 13
	v_or_b32_e32 v17, 0x1000, v3
	v_med3_i32 v11, v11, 0, 13
	s_delay_alu instid0(VALU_DEP_4) | instskip(NEXT) | instid1(VALU_DEP_3)
	v_or_b32_e32 v18, 0x1000, v5
	v_lshrrev_b32_e32 v19, v13, v17
	s_delay_alu instid0(VALU_DEP_2) | instskip(NEXT) | instid1(VALU_DEP_2)
	v_lshrrev_b32_e32 v20, v11, v18
	v_lshlrev_b32_e32 v13, v13, v19
	s_delay_alu instid0(VALU_DEP_2) | instskip(NEXT) | instid1(VALU_DEP_2)
	v_lshlrev_b32_e32 v11, v11, v20
	v_cmp_ne_u32_e32 vcc_lo, v13, v17
	v_lshl_or_b32 v17, v12, 12, v3
	s_wait_alu 0xfffd
	v_cndmask_b32_e64 v13, 0, 1, vcc_lo
	v_cmp_ne_u32_e32 vcc_lo, v11, v18
	v_lshl_or_b32 v18, v14, 12, v5
	s_delay_alu instid0(VALU_DEP_3) | instskip(SKIP_3) | instid1(VALU_DEP_2)
	v_or_b32_e32 v13, v19, v13
	s_wait_alu 0xfffd
	v_cndmask_b32_e64 v11, 0, 1, vcc_lo
	v_cmp_gt_i32_e32 vcc_lo, 1, v12
	v_or_b32_e32 v11, v20, v11
	s_wait_alu 0xfffd
	v_cndmask_b32_e32 v13, v17, v13, vcc_lo
	v_cmp_gt_i32_e32 vcc_lo, 1, v14
	s_delay_alu instid0(VALU_DEP_2)
	v_and_b32_e32 v17, 7, v13
	s_wait_alu 0xfffd
	v_cndmask_b32_e32 v11, v18, v11, vcc_lo
	v_cmp_ne_u32_e32 vcc_lo, 0, v3
	v_lshrrev_b32_e32 v13, 2, v13
	v_cmp_eq_u32_e64 s0, 3, v17
	s_delay_alu instid0(VALU_DEP_4)
	v_and_b32_e32 v18, 7, v11
	s_wait_alu 0xfffd
	v_cndmask_b32_e64 v3, 0, 1, vcc_lo
	v_cmp_ne_u32_e32 vcc_lo, 0, v5
	v_lshrrev_b32_e32 v11, 2, v11
	v_cmp_lt_i32_e64 s1, 5, v18
	v_cmp_eq_u32_e64 s2, 3, v18
	s_wait_alu 0xfffd
	v_cndmask_b32_e64 v5, 0, 1, vcc_lo
	v_cmp_lt_i32_e32 vcc_lo, 5, v17
	v_lshl_or_b32 v3, v3, 9, 0x7c00
	s_delay_alu instid0(VALU_DEP_3)
	v_lshl_or_b32 v5, v5, 9, 0x7c00
	s_or_b32 vcc_lo, s0, vcc_lo
	s_wait_alu 0xfffe
	v_add_co_ci_u32_e32 v13, vcc_lo, 0, v13, vcc_lo
	s_or_b32 vcc_lo, s2, s1
	s_wait_alu 0xfffe
	v_add_co_ci_u32_e32 v11, vcc_lo, 0, v11, vcc_lo
	v_cmp_gt_i32_e32 vcc_lo, 31, v12
	s_wait_alu 0xfffd
	v_cndmask_b32_e32 v13, 0x7c00, v13, vcc_lo
	v_cmp_gt_i32_e32 vcc_lo, 31, v14
	s_wait_alu 0xfffd
	v_cndmask_b32_e32 v11, 0x7c00, v11, vcc_lo
	v_cmp_eq_u32_e32 vcc_lo, 0x40f, v12
	s_wait_alu 0xfffd
	v_cndmask_b32_e32 v3, v13, v3, vcc_lo
	v_cmp_eq_u32_e32 vcc_lo, 0x40f, v14
	s_delay_alu instid0(VALU_DEP_2)
	v_and_or_b32 v3, 0x8000, v4, v3
	s_wait_alu 0xfffd
	v_cndmask_b32_e32 v5, v11, v5, vcc_lo
	v_add_co_u32 v0, vcc_lo, v0, s6
	s_wait_alu 0xfffd
	v_add_co_ci_u32_e32 v1, vcc_lo, s7, v1, vcc_lo
	s_delay_alu instid0(VALU_DEP_3) | instskip(SKIP_1) | instid1(VALU_DEP_1)
	v_and_or_b32 v4, 0x8000, v6, v5
	v_and_b32_e32 v3, 0xffff, v3
	v_lshl_or_b32 v3, v4, 16, v3
	s_wait_dscnt 0x4
	v_lshrrev_b32_e32 v4, 16, v7
	global_store_b32 v[0:1], v3, off
	global_load_b32 v3, v[15:16], off offset:8848
	s_wait_loadcnt 0x0
	v_lshrrev_b32_e32 v5, 16, v3
	s_delay_alu instid0(VALU_DEP_1) | instskip(SKIP_1) | instid1(VALU_DEP_2)
	v_mul_f16_e32 v6, v4, v5
	v_mul_f16_e32 v5, v7, v5
	v_fmac_f16_e32 v6, v7, v3
	s_delay_alu instid0(VALU_DEP_2) | instskip(NEXT) | instid1(VALU_DEP_2)
	v_fma_f16 v3, v3, v4, -v5
	v_cvt_f32_f16_e32 v4, v6
	s_delay_alu instid0(VALU_DEP_2) | instskip(NEXT) | instid1(VALU_DEP_2)
	v_cvt_f32_f16_e32 v5, v3
	v_cvt_f64_f32_e32 v[3:4], v4
	s_delay_alu instid0(VALU_DEP_2) | instskip(NEXT) | instid1(VALU_DEP_2)
	v_cvt_f64_f32_e32 v[5:6], v5
	v_mul_f64_e32 v[3:4], s[10:11], v[3:4]
	s_delay_alu instid0(VALU_DEP_2) | instskip(NEXT) | instid1(VALU_DEP_2)
	v_mul_f64_e32 v[5:6], s[10:11], v[5:6]
	v_and_or_b32 v3, 0x1ff, v4, v3
	s_delay_alu instid0(VALU_DEP_2)
	v_and_or_b32 v5, 0x1ff, v6, v5
	v_lshrrev_b32_e32 v7, 8, v4
	v_bfe_u32 v11, v4, 20, 11
	v_lshrrev_b32_e32 v12, 8, v6
	v_cmp_ne_u32_e32 vcc_lo, 0, v3
	v_bfe_u32 v13, v6, 20, 11
	v_lshrrev_b32_e32 v4, 16, v4
	v_sub_nc_u32_e32 v14, 0x3f1, v11
	v_add_nc_u32_e32 v11, 0xfffffc10, v11
	s_wait_alu 0xfffd
	v_cndmask_b32_e64 v3, 0, 1, vcc_lo
	v_cmp_ne_u32_e32 vcc_lo, 0, v5
	v_lshrrev_b32_e32 v6, 16, v6
	s_delay_alu instid0(VALU_DEP_3) | instskip(SKIP_4) | instid1(VALU_DEP_3)
	v_and_or_b32 v3, 0xffe, v7, v3
	s_wait_alu 0xfffd
	v_cndmask_b32_e64 v5, 0, 1, vcc_lo
	v_sub_nc_u32_e32 v7, 0x3f1, v13
	v_add_nc_u32_e32 v13, 0xfffffc10, v13
	v_and_or_b32 v5, 0xffe, v12, v5
	v_med3_i32 v12, v14, 0, 13
	v_or_b32_e32 v14, 0x1000, v3
	v_med3_i32 v7, v7, 0, 13
	s_delay_alu instid0(VALU_DEP_4) | instskip(NEXT) | instid1(VALU_DEP_3)
	v_or_b32_e32 v17, 0x1000, v5
	v_lshrrev_b32_e32 v18, v12, v14
	s_delay_alu instid0(VALU_DEP_2) | instskip(NEXT) | instid1(VALU_DEP_2)
	v_lshrrev_b32_e32 v19, v7, v17
	v_lshlrev_b32_e32 v12, v12, v18
	s_delay_alu instid0(VALU_DEP_2) | instskip(NEXT) | instid1(VALU_DEP_2)
	v_lshlrev_b32_e32 v7, v7, v19
	v_cmp_ne_u32_e32 vcc_lo, v12, v14
	v_lshl_or_b32 v14, v11, 12, v3
	s_wait_alu 0xfffd
	v_cndmask_b32_e64 v12, 0, 1, vcc_lo
	v_cmp_ne_u32_e32 vcc_lo, v7, v17
	v_lshl_or_b32 v17, v13, 12, v5
	s_delay_alu instid0(VALU_DEP_3) | instskip(SKIP_3) | instid1(VALU_DEP_2)
	v_or_b32_e32 v12, v18, v12
	s_wait_alu 0xfffd
	v_cndmask_b32_e64 v7, 0, 1, vcc_lo
	v_cmp_gt_i32_e32 vcc_lo, 1, v11
	v_or_b32_e32 v7, v19, v7
	s_wait_alu 0xfffd
	v_cndmask_b32_e32 v12, v14, v12, vcc_lo
	v_cmp_gt_i32_e32 vcc_lo, 1, v13
	s_wait_alu 0xfffd
	s_delay_alu instid0(VALU_DEP_2) | instskip(SKIP_2) | instid1(VALU_DEP_3)
	v_dual_cndmask_b32 v7, v17, v7 :: v_dual_and_b32 v14, 7, v12
	v_cmp_ne_u32_e32 vcc_lo, 0, v3
	v_lshrrev_b32_e32 v12, 2, v12
	v_cmp_eq_u32_e64 s0, 3, v14
	s_delay_alu instid0(VALU_DEP_4)
	v_and_b32_e32 v17, 7, v7
	s_wait_alu 0xfffd
	v_cndmask_b32_e64 v3, 0, 1, vcc_lo
	v_cmp_ne_u32_e32 vcc_lo, 0, v5
	v_lshrrev_b32_e32 v7, 2, v7
	v_cmp_lt_i32_e64 s1, 5, v17
	v_cmp_eq_u32_e64 s2, 3, v17
	s_wait_alu 0xfffd
	v_cndmask_b32_e64 v5, 0, 1, vcc_lo
	v_cmp_lt_i32_e32 vcc_lo, 5, v14
	v_lshl_or_b32 v3, v3, 9, 0x7c00
	s_delay_alu instid0(VALU_DEP_3)
	v_lshl_or_b32 v5, v5, 9, 0x7c00
	s_or_b32 vcc_lo, s0, vcc_lo
	s_wait_alu 0xfffe
	v_add_co_ci_u32_e32 v12, vcc_lo, 0, v12, vcc_lo
	s_or_b32 vcc_lo, s2, s1
	s_wait_alu 0xfffe
	v_add_co_ci_u32_e32 v7, vcc_lo, 0, v7, vcc_lo
	v_cmp_gt_i32_e32 vcc_lo, 31, v11
	s_wait_alu 0xfffd
	v_cndmask_b32_e32 v12, 0x7c00, v12, vcc_lo
	v_cmp_gt_i32_e32 vcc_lo, 31, v13
	s_wait_alu 0xfffd
	v_cndmask_b32_e32 v7, 0x7c00, v7, vcc_lo
	v_cmp_eq_u32_e32 vcc_lo, 0x40f, v11
	s_wait_alu 0xfffd
	v_cndmask_b32_e32 v3, v12, v3, vcc_lo
	v_cmp_eq_u32_e32 vcc_lo, 0x40f, v13
	s_delay_alu instid0(VALU_DEP_2)
	v_and_or_b32 v3, 0x8000, v4, v3
	s_wait_alu 0xfffd
	v_cndmask_b32_e32 v5, v7, v5, vcc_lo
	v_add_co_u32 v0, vcc_lo, v0, s6
	s_wait_alu 0xfffd
	v_add_co_ci_u32_e32 v1, vcc_lo, s7, v1, vcc_lo
	s_delay_alu instid0(VALU_DEP_3) | instskip(SKIP_1) | instid1(VALU_DEP_1)
	v_and_or_b32 v4, 0x8000, v6, v5
	v_and_b32_e32 v3, 0xffff, v3
	v_lshl_or_b32 v3, v4, 16, v3
	s_wait_dscnt 0x3
	v_lshrrev_b32_e32 v4, 16, v8
	global_store_b32 v[0:1], v3, off
	global_load_b32 v3, v[15:16], off offset:11200
	s_wait_loadcnt 0x0
	v_lshrrev_b32_e32 v5, 16, v3
	s_delay_alu instid0(VALU_DEP_1) | instskip(SKIP_1) | instid1(VALU_DEP_2)
	v_mul_f16_e32 v6, v4, v5
	v_mul_f16_e32 v5, v8, v5
	v_fmac_f16_e32 v6, v8, v3
	s_delay_alu instid0(VALU_DEP_2) | instskip(NEXT) | instid1(VALU_DEP_2)
	v_fma_f16 v3, v3, v4, -v5
	v_cvt_f32_f16_e32 v4, v6
	s_delay_alu instid0(VALU_DEP_2) | instskip(NEXT) | instid1(VALU_DEP_2)
	v_cvt_f32_f16_e32 v5, v3
	v_cvt_f64_f32_e32 v[3:4], v4
	s_delay_alu instid0(VALU_DEP_2) | instskip(NEXT) | instid1(VALU_DEP_2)
	v_cvt_f64_f32_e32 v[5:6], v5
	v_mul_f64_e32 v[3:4], s[10:11], v[3:4]
	s_delay_alu instid0(VALU_DEP_2) | instskip(NEXT) | instid1(VALU_DEP_2)
	v_mul_f64_e32 v[5:6], s[10:11], v[5:6]
	v_and_or_b32 v3, 0x1ff, v4, v3
	s_delay_alu instid0(VALU_DEP_2)
	v_and_or_b32 v5, 0x1ff, v6, v5
	v_lshrrev_b32_e32 v7, 8, v4
	v_bfe_u32 v8, v4, 20, 11
	v_lshrrev_b32_e32 v11, 8, v6
	v_cmp_ne_u32_e32 vcc_lo, 0, v3
	v_bfe_u32 v12, v6, 20, 11
	v_lshrrev_b32_e32 v4, 16, v4
	v_sub_nc_u32_e32 v13, 0x3f1, v8
	v_add_nc_u32_e32 v8, 0xfffffc10, v8
	s_wait_alu 0xfffd
	v_cndmask_b32_e64 v3, 0, 1, vcc_lo
	v_cmp_ne_u32_e32 vcc_lo, 0, v5
	v_lshrrev_b32_e32 v6, 16, v6
	s_delay_alu instid0(VALU_DEP_3) | instskip(SKIP_4) | instid1(VALU_DEP_3)
	v_and_or_b32 v3, 0xffe, v7, v3
	s_wait_alu 0xfffd
	v_cndmask_b32_e64 v5, 0, 1, vcc_lo
	v_sub_nc_u32_e32 v7, 0x3f1, v12
	v_add_nc_u32_e32 v12, 0xfffffc10, v12
	v_and_or_b32 v5, 0xffe, v11, v5
	v_med3_i32 v11, v13, 0, 13
	v_or_b32_e32 v13, 0x1000, v3
	v_med3_i32 v7, v7, 0, 13
	s_delay_alu instid0(VALU_DEP_4) | instskip(NEXT) | instid1(VALU_DEP_3)
	v_or_b32_e32 v14, 0x1000, v5
	v_lshrrev_b32_e32 v17, v11, v13
	s_delay_alu instid0(VALU_DEP_2) | instskip(NEXT) | instid1(VALU_DEP_2)
	v_lshrrev_b32_e32 v18, v7, v14
	v_lshlrev_b32_e32 v11, v11, v17
	s_delay_alu instid0(VALU_DEP_2) | instskip(NEXT) | instid1(VALU_DEP_2)
	v_lshlrev_b32_e32 v7, v7, v18
	v_cmp_ne_u32_e32 vcc_lo, v11, v13
	v_lshl_or_b32 v13, v8, 12, v3
	s_wait_alu 0xfffd
	v_cndmask_b32_e64 v11, 0, 1, vcc_lo
	v_cmp_ne_u32_e32 vcc_lo, v7, v14
	v_lshl_or_b32 v14, v12, 12, v5
	s_delay_alu instid0(VALU_DEP_3) | instskip(SKIP_3) | instid1(VALU_DEP_2)
	v_or_b32_e32 v11, v17, v11
	s_wait_alu 0xfffd
	v_cndmask_b32_e64 v7, 0, 1, vcc_lo
	v_cmp_gt_i32_e32 vcc_lo, 1, v8
	v_or_b32_e32 v7, v18, v7
	s_wait_alu 0xfffd
	v_cndmask_b32_e32 v11, v13, v11, vcc_lo
	v_cmp_gt_i32_e32 vcc_lo, 1, v12
	s_delay_alu instid0(VALU_DEP_2)
	v_and_b32_e32 v13, 7, v11
	s_wait_alu 0xfffd
	v_cndmask_b32_e32 v7, v14, v7, vcc_lo
	v_cmp_ne_u32_e32 vcc_lo, 0, v3
	v_lshrrev_b32_e32 v11, 2, v11
	v_cmp_eq_u32_e64 s0, 3, v13
	s_delay_alu instid0(VALU_DEP_4)
	v_and_b32_e32 v14, 7, v7
	s_wait_alu 0xfffd
	v_cndmask_b32_e64 v3, 0, 1, vcc_lo
	v_cmp_ne_u32_e32 vcc_lo, 0, v5
	v_lshrrev_b32_e32 v7, 2, v7
	v_cmp_lt_i32_e64 s1, 5, v14
	v_cmp_eq_u32_e64 s2, 3, v14
	s_wait_alu 0xfffd
	v_cndmask_b32_e64 v5, 0, 1, vcc_lo
	v_cmp_lt_i32_e32 vcc_lo, 5, v13
	v_lshl_or_b32 v3, v3, 9, 0x7c00
	s_delay_alu instid0(VALU_DEP_3)
	v_lshl_or_b32 v5, v5, 9, 0x7c00
	s_or_b32 vcc_lo, s0, vcc_lo
	s_wait_alu 0xfffe
	v_add_co_ci_u32_e32 v11, vcc_lo, 0, v11, vcc_lo
	s_or_b32 vcc_lo, s2, s1
	s_wait_alu 0xfffe
	v_add_co_ci_u32_e32 v7, vcc_lo, 0, v7, vcc_lo
	v_cmp_gt_i32_e32 vcc_lo, 31, v8
	s_wait_alu 0xfffd
	v_cndmask_b32_e32 v11, 0x7c00, v11, vcc_lo
	v_cmp_gt_i32_e32 vcc_lo, 31, v12
	s_wait_alu 0xfffd
	v_cndmask_b32_e32 v7, 0x7c00, v7, vcc_lo
	v_cmp_eq_u32_e32 vcc_lo, 0x40f, v8
	s_wait_alu 0xfffd
	v_cndmask_b32_e32 v3, v11, v3, vcc_lo
	v_cmp_eq_u32_e32 vcc_lo, 0x40f, v12
	s_delay_alu instid0(VALU_DEP_2)
	v_and_or_b32 v3, 0x8000, v4, v3
	s_wait_alu 0xfffd
	v_cndmask_b32_e32 v5, v7, v5, vcc_lo
	v_add_co_u32 v0, vcc_lo, v0, s6
	s_wait_alu 0xfffd
	v_add_co_ci_u32_e32 v1, vcc_lo, s7, v1, vcc_lo
	s_delay_alu instid0(VALU_DEP_3) | instskip(SKIP_1) | instid1(VALU_DEP_1)
	v_and_or_b32 v4, 0x8000, v6, v5
	v_and_b32_e32 v3, 0xffff, v3
	v_lshl_or_b32 v3, v4, 16, v3
	s_wait_dscnt 0x2
	v_lshrrev_b32_e32 v4, 16, v9
	global_store_b32 v[0:1], v3, off
	global_load_b32 v3, v[15:16], off offset:13552
	s_wait_loadcnt 0x0
	v_lshrrev_b32_e32 v5, 16, v3
	s_delay_alu instid0(VALU_DEP_1) | instskip(SKIP_1) | instid1(VALU_DEP_2)
	v_mul_f16_e32 v6, v4, v5
	v_mul_f16_e32 v5, v9, v5
	v_fmac_f16_e32 v6, v9, v3
	s_delay_alu instid0(VALU_DEP_2) | instskip(NEXT) | instid1(VALU_DEP_2)
	v_fma_f16 v3, v3, v4, -v5
	v_cvt_f32_f16_e32 v4, v6
	s_delay_alu instid0(VALU_DEP_2) | instskip(NEXT) | instid1(VALU_DEP_2)
	v_cvt_f32_f16_e32 v5, v3
	v_cvt_f64_f32_e32 v[3:4], v4
	s_delay_alu instid0(VALU_DEP_2) | instskip(NEXT) | instid1(VALU_DEP_2)
	v_cvt_f64_f32_e32 v[5:6], v5
	v_mul_f64_e32 v[3:4], s[10:11], v[3:4]
	s_delay_alu instid0(VALU_DEP_2) | instskip(NEXT) | instid1(VALU_DEP_2)
	v_mul_f64_e32 v[5:6], s[10:11], v[5:6]
	v_and_or_b32 v3, 0x1ff, v4, v3
	s_delay_alu instid0(VALU_DEP_2)
	v_and_or_b32 v5, 0x1ff, v6, v5
	v_lshrrev_b32_e32 v7, 8, v4
	v_bfe_u32 v8, v4, 20, 11
	v_lshrrev_b32_e32 v9, 8, v6
	v_cmp_ne_u32_e32 vcc_lo, 0, v3
	v_bfe_u32 v11, v6, 20, 11
	v_lshrrev_b32_e32 v4, 16, v4
	v_sub_nc_u32_e32 v12, 0x3f1, v8
	v_add_nc_u32_e32 v8, 0xfffffc10, v8
	s_wait_alu 0xfffd
	v_cndmask_b32_e64 v3, 0, 1, vcc_lo
	v_cmp_ne_u32_e32 vcc_lo, 0, v5
	v_lshrrev_b32_e32 v6, 16, v6
	s_delay_alu instid0(VALU_DEP_3) | instskip(SKIP_4) | instid1(VALU_DEP_3)
	v_and_or_b32 v3, 0xffe, v7, v3
	s_wait_alu 0xfffd
	v_cndmask_b32_e64 v5, 0, 1, vcc_lo
	v_sub_nc_u32_e32 v7, 0x3f1, v11
	v_add_nc_u32_e32 v11, 0xfffffc10, v11
	v_and_or_b32 v5, 0xffe, v9, v5
	v_med3_i32 v9, v12, 0, 13
	v_or_b32_e32 v12, 0x1000, v3
	v_med3_i32 v7, v7, 0, 13
	s_delay_alu instid0(VALU_DEP_4) | instskip(NEXT) | instid1(VALU_DEP_3)
	v_or_b32_e32 v13, 0x1000, v5
	v_lshrrev_b32_e32 v14, v9, v12
	s_delay_alu instid0(VALU_DEP_2) | instskip(NEXT) | instid1(VALU_DEP_2)
	v_lshrrev_b32_e32 v17, v7, v13
	v_lshlrev_b32_e32 v9, v9, v14
	s_delay_alu instid0(VALU_DEP_2) | instskip(NEXT) | instid1(VALU_DEP_2)
	v_lshlrev_b32_e32 v7, v7, v17
	v_cmp_ne_u32_e32 vcc_lo, v9, v12
	v_lshl_or_b32 v12, v8, 12, v3
	s_wait_alu 0xfffd
	v_cndmask_b32_e64 v9, 0, 1, vcc_lo
	v_cmp_ne_u32_e32 vcc_lo, v7, v13
	v_lshl_or_b32 v13, v11, 12, v5
	s_delay_alu instid0(VALU_DEP_3) | instskip(SKIP_3) | instid1(VALU_DEP_2)
	v_or_b32_e32 v9, v14, v9
	s_wait_alu 0xfffd
	v_cndmask_b32_e64 v7, 0, 1, vcc_lo
	v_cmp_gt_i32_e32 vcc_lo, 1, v8
	v_or_b32_e32 v7, v17, v7
	s_wait_alu 0xfffd
	v_cndmask_b32_e32 v9, v12, v9, vcc_lo
	v_cmp_gt_i32_e32 vcc_lo, 1, v11
	s_wait_alu 0xfffd
	s_delay_alu instid0(VALU_DEP_2) | instskip(SKIP_2) | instid1(VALU_DEP_3)
	v_dual_cndmask_b32 v7, v13, v7 :: v_dual_and_b32 v12, 7, v9
	v_cmp_ne_u32_e32 vcc_lo, 0, v3
	v_lshrrev_b32_e32 v9, 2, v9
	v_cmp_eq_u32_e64 s0, 3, v12
	s_delay_alu instid0(VALU_DEP_4)
	v_and_b32_e32 v13, 7, v7
	s_wait_alu 0xfffd
	v_cndmask_b32_e64 v3, 0, 1, vcc_lo
	v_cmp_ne_u32_e32 vcc_lo, 0, v5
	v_lshrrev_b32_e32 v7, 2, v7
	v_cmp_lt_i32_e64 s1, 5, v13
	v_cmp_eq_u32_e64 s2, 3, v13
	s_wait_alu 0xfffd
	v_cndmask_b32_e64 v5, 0, 1, vcc_lo
	v_cmp_lt_i32_e32 vcc_lo, 5, v12
	v_lshl_or_b32 v3, v3, 9, 0x7c00
	s_delay_alu instid0(VALU_DEP_3)
	v_lshl_or_b32 v5, v5, 9, 0x7c00
	s_or_b32 vcc_lo, s0, vcc_lo
	s_wait_alu 0xfffe
	v_add_co_ci_u32_e32 v9, vcc_lo, 0, v9, vcc_lo
	s_or_b32 vcc_lo, s2, s1
	s_wait_alu 0xfffe
	v_add_co_ci_u32_e32 v7, vcc_lo, 0, v7, vcc_lo
	v_cmp_gt_i32_e32 vcc_lo, 31, v8
	s_wait_alu 0xfffd
	v_cndmask_b32_e32 v9, 0x7c00, v9, vcc_lo
	v_cmp_gt_i32_e32 vcc_lo, 31, v11
	s_wait_alu 0xfffd
	v_cndmask_b32_e32 v7, 0x7c00, v7, vcc_lo
	v_cmp_eq_u32_e32 vcc_lo, 0x40f, v8
	s_wait_alu 0xfffd
	v_cndmask_b32_e32 v3, v9, v3, vcc_lo
	v_cmp_eq_u32_e32 vcc_lo, 0x40f, v11
	s_delay_alu instid0(VALU_DEP_2)
	v_and_or_b32 v3, 0x8000, v4, v3
	s_wait_alu 0xfffd
	v_cndmask_b32_e32 v5, v7, v5, vcc_lo
	v_add_co_u32 v0, vcc_lo, v0, s6
	s_wait_alu 0xfffd
	v_add_co_ci_u32_e32 v1, vcc_lo, s7, v1, vcc_lo
	s_delay_alu instid0(VALU_DEP_3) | instskip(SKIP_1) | instid1(VALU_DEP_1)
	v_and_or_b32 v4, 0x8000, v6, v5
	v_and_b32_e32 v3, 0xffff, v3
	v_lshl_or_b32 v3, v4, 16, v3
	s_wait_dscnt 0x1
	v_lshrrev_b32_e32 v4, 16, v10
	global_store_b32 v[0:1], v3, off
	global_load_b32 v3, v[15:16], off offset:15904
	s_wait_loadcnt 0x0
	v_lshrrev_b32_e32 v5, 16, v3
	s_delay_alu instid0(VALU_DEP_1) | instskip(SKIP_1) | instid1(VALU_DEP_2)
	v_mul_f16_e32 v6, v4, v5
	v_mul_f16_e32 v5, v10, v5
	v_fmac_f16_e32 v6, v10, v3
	s_delay_alu instid0(VALU_DEP_2) | instskip(NEXT) | instid1(VALU_DEP_2)
	v_fma_f16 v3, v3, v4, -v5
	v_cvt_f32_f16_e32 v4, v6
	s_delay_alu instid0(VALU_DEP_2) | instskip(NEXT) | instid1(VALU_DEP_2)
	v_cvt_f32_f16_e32 v5, v3
	v_cvt_f64_f32_e32 v[3:4], v4
	s_delay_alu instid0(VALU_DEP_2) | instskip(NEXT) | instid1(VALU_DEP_2)
	v_cvt_f64_f32_e32 v[5:6], v5
	v_mul_f64_e32 v[3:4], s[10:11], v[3:4]
	s_delay_alu instid0(VALU_DEP_2) | instskip(NEXT) | instid1(VALU_DEP_2)
	v_mul_f64_e32 v[5:6], s[10:11], v[5:6]
	v_and_or_b32 v3, 0x1ff, v4, v3
	s_delay_alu instid0(VALU_DEP_2)
	v_and_or_b32 v5, 0x1ff, v6, v5
	v_lshrrev_b32_e32 v7, 8, v4
	v_bfe_u32 v8, v4, 20, 11
	v_lshrrev_b32_e32 v9, 8, v6
	v_cmp_ne_u32_e32 vcc_lo, 0, v3
	v_bfe_u32 v10, v6, 20, 11
	v_lshrrev_b32_e32 v4, 16, v4
	v_sub_nc_u32_e32 v11, 0x3f1, v8
	v_add_nc_u32_e32 v8, 0xfffffc10, v8
	s_wait_alu 0xfffd
	v_cndmask_b32_e64 v3, 0, 1, vcc_lo
	v_cmp_ne_u32_e32 vcc_lo, 0, v5
	v_lshrrev_b32_e32 v6, 16, v6
	s_delay_alu instid0(VALU_DEP_3) | instskip(SKIP_4) | instid1(VALU_DEP_3)
	v_and_or_b32 v3, 0xffe, v7, v3
	s_wait_alu 0xfffd
	v_cndmask_b32_e64 v5, 0, 1, vcc_lo
	v_sub_nc_u32_e32 v7, 0x3f1, v10
	v_add_nc_u32_e32 v10, 0xfffffc10, v10
	v_and_or_b32 v5, 0xffe, v9, v5
	v_med3_i32 v9, v11, 0, 13
	v_or_b32_e32 v11, 0x1000, v3
	v_med3_i32 v7, v7, 0, 13
	s_delay_alu instid0(VALU_DEP_4) | instskip(NEXT) | instid1(VALU_DEP_3)
	v_or_b32_e32 v12, 0x1000, v5
	v_lshrrev_b32_e32 v13, v9, v11
	s_delay_alu instid0(VALU_DEP_2) | instskip(NEXT) | instid1(VALU_DEP_2)
	v_lshrrev_b32_e32 v14, v7, v12
	v_lshlrev_b32_e32 v9, v9, v13
	s_delay_alu instid0(VALU_DEP_2) | instskip(NEXT) | instid1(VALU_DEP_2)
	v_lshlrev_b32_e32 v7, v7, v14
	v_cmp_ne_u32_e32 vcc_lo, v9, v11
	v_lshl_or_b32 v11, v8, 12, v3
	s_wait_alu 0xfffd
	v_cndmask_b32_e64 v9, 0, 1, vcc_lo
	v_cmp_ne_u32_e32 vcc_lo, v7, v12
	v_lshl_or_b32 v12, v10, 12, v5
	s_delay_alu instid0(VALU_DEP_3) | instskip(SKIP_3) | instid1(VALU_DEP_2)
	v_or_b32_e32 v9, v13, v9
	s_wait_alu 0xfffd
	v_cndmask_b32_e64 v7, 0, 1, vcc_lo
	v_cmp_gt_i32_e32 vcc_lo, 1, v8
	v_or_b32_e32 v7, v14, v7
	s_wait_alu 0xfffd
	v_cndmask_b32_e32 v9, v11, v9, vcc_lo
	v_cmp_gt_i32_e32 vcc_lo, 1, v10
	s_delay_alu instid0(VALU_DEP_2)
	v_and_b32_e32 v11, 7, v9
	s_wait_alu 0xfffd
	v_cndmask_b32_e32 v7, v12, v7, vcc_lo
	v_cmp_ne_u32_e32 vcc_lo, 0, v3
	v_lshrrev_b32_e32 v9, 2, v9
	v_cmp_eq_u32_e64 s0, 3, v11
	s_delay_alu instid0(VALU_DEP_4)
	v_and_b32_e32 v12, 7, v7
	s_wait_alu 0xfffd
	v_cndmask_b32_e64 v3, 0, 1, vcc_lo
	v_cmp_ne_u32_e32 vcc_lo, 0, v5
	v_lshrrev_b32_e32 v7, 2, v7
	v_cmp_lt_i32_e64 s1, 5, v12
	v_cmp_eq_u32_e64 s2, 3, v12
	s_wait_alu 0xfffd
	v_cndmask_b32_e64 v5, 0, 1, vcc_lo
	v_cmp_lt_i32_e32 vcc_lo, 5, v11
	v_lshl_or_b32 v3, v3, 9, 0x7c00
	s_delay_alu instid0(VALU_DEP_3)
	v_lshl_or_b32 v5, v5, 9, 0x7c00
	s_or_b32 vcc_lo, s0, vcc_lo
	s_wait_alu 0xfffe
	v_add_co_ci_u32_e32 v9, vcc_lo, 0, v9, vcc_lo
	s_or_b32 vcc_lo, s2, s1
	s_wait_alu 0xfffe
	v_add_co_ci_u32_e32 v7, vcc_lo, 0, v7, vcc_lo
	v_cmp_gt_i32_e32 vcc_lo, 31, v8
	s_wait_alu 0xfffd
	v_cndmask_b32_e32 v9, 0x7c00, v9, vcc_lo
	v_cmp_gt_i32_e32 vcc_lo, 31, v10
	s_wait_alu 0xfffd
	v_cndmask_b32_e32 v7, 0x7c00, v7, vcc_lo
	v_cmp_eq_u32_e32 vcc_lo, 0x40f, v8
	s_wait_alu 0xfffd
	v_cndmask_b32_e32 v3, v9, v3, vcc_lo
	v_cmp_eq_u32_e32 vcc_lo, 0x40f, v10
	s_delay_alu instid0(VALU_DEP_2)
	v_and_or_b32 v3, 0x8000, v4, v3
	s_wait_alu 0xfffd
	v_cndmask_b32_e32 v5, v7, v5, vcc_lo
	v_add_co_u32 v0, vcc_lo, v0, s6
	s_wait_alu 0xfffd
	v_add_co_ci_u32_e32 v1, vcc_lo, s7, v1, vcc_lo
	s_delay_alu instid0(VALU_DEP_3) | instskip(SKIP_1) | instid1(VALU_DEP_1)
	v_and_or_b32 v4, 0x8000, v6, v5
	v_and_b32_e32 v3, 0xffff, v3
	v_lshl_or_b32 v3, v4, 16, v3
	s_wait_dscnt 0x0
	v_lshrrev_b32_e32 v4, 16, v2
	global_store_b32 v[0:1], v3, off
	global_load_b32 v3, v[15:16], off offset:18256
	s_wait_loadcnt 0x0
	v_lshrrev_b32_e32 v5, 16, v3
	s_delay_alu instid0(VALU_DEP_1) | instskip(SKIP_1) | instid1(VALU_DEP_2)
	v_mul_f16_e32 v6, v4, v5
	v_mul_f16_e32 v5, v2, v5
	v_fmac_f16_e32 v6, v2, v3
	s_delay_alu instid0(VALU_DEP_2) | instskip(NEXT) | instid1(VALU_DEP_2)
	v_fma_f16 v2, v3, v4, -v5
	v_cvt_f32_f16_e32 v3, v6
	s_delay_alu instid0(VALU_DEP_2) | instskip(NEXT) | instid1(VALU_DEP_2)
	v_cvt_f32_f16_e32 v4, v2
	v_cvt_f64_f32_e32 v[2:3], v3
	s_delay_alu instid0(VALU_DEP_2) | instskip(NEXT) | instid1(VALU_DEP_2)
	v_cvt_f64_f32_e32 v[4:5], v4
	v_mul_f64_e32 v[2:3], s[10:11], v[2:3]
	s_delay_alu instid0(VALU_DEP_2) | instskip(NEXT) | instid1(VALU_DEP_2)
	v_mul_f64_e32 v[4:5], s[10:11], v[4:5]
	v_and_or_b32 v2, 0x1ff, v3, v2
	s_delay_alu instid0(VALU_DEP_2)
	v_and_or_b32 v4, 0x1ff, v5, v4
	v_lshrrev_b32_e32 v6, 8, v3
	v_bfe_u32 v7, v3, 20, 11
	v_lshrrev_b32_e32 v8, 8, v5
	v_cmp_ne_u32_e32 vcc_lo, 0, v2
	v_bfe_u32 v9, v5, 20, 11
	v_lshrrev_b32_e32 v3, 16, v3
	v_sub_nc_u32_e32 v10, 0x3f1, v7
	v_add_nc_u32_e32 v7, 0xfffffc10, v7
	s_wait_alu 0xfffd
	v_cndmask_b32_e64 v2, 0, 1, vcc_lo
	v_cmp_ne_u32_e32 vcc_lo, 0, v4
	v_lshrrev_b32_e32 v5, 16, v5
	s_delay_alu instid0(VALU_DEP_3) | instskip(SKIP_4) | instid1(VALU_DEP_3)
	v_and_or_b32 v2, 0xffe, v6, v2
	s_wait_alu 0xfffd
	v_cndmask_b32_e64 v4, 0, 1, vcc_lo
	v_sub_nc_u32_e32 v6, 0x3f1, v9
	v_add_nc_u32_e32 v9, 0xfffffc10, v9
	v_and_or_b32 v4, 0xffe, v8, v4
	v_med3_i32 v8, v10, 0, 13
	v_or_b32_e32 v10, 0x1000, v2
	v_med3_i32 v6, v6, 0, 13
	s_delay_alu instid0(VALU_DEP_4) | instskip(NEXT) | instid1(VALU_DEP_3)
	v_or_b32_e32 v11, 0x1000, v4
	v_lshrrev_b32_e32 v12, v8, v10
	s_delay_alu instid0(VALU_DEP_2) | instskip(NEXT) | instid1(VALU_DEP_2)
	v_lshrrev_b32_e32 v13, v6, v11
	v_lshlrev_b32_e32 v8, v8, v12
	s_delay_alu instid0(VALU_DEP_2) | instskip(NEXT) | instid1(VALU_DEP_2)
	v_lshlrev_b32_e32 v6, v6, v13
	v_cmp_ne_u32_e32 vcc_lo, v8, v10
	v_lshl_or_b32 v10, v7, 12, v2
	s_wait_alu 0xfffd
	v_cndmask_b32_e64 v8, 0, 1, vcc_lo
	v_cmp_ne_u32_e32 vcc_lo, v6, v11
	v_lshl_or_b32 v11, v9, 12, v4
	s_delay_alu instid0(VALU_DEP_3) | instskip(SKIP_3) | instid1(VALU_DEP_2)
	v_or_b32_e32 v8, v12, v8
	s_wait_alu 0xfffd
	v_cndmask_b32_e64 v6, 0, 1, vcc_lo
	v_cmp_gt_i32_e32 vcc_lo, 1, v7
	v_or_b32_e32 v6, v13, v6
	s_wait_alu 0xfffd
	v_cndmask_b32_e32 v8, v10, v8, vcc_lo
	v_cmp_gt_i32_e32 vcc_lo, 1, v9
	s_delay_alu instid0(VALU_DEP_2)
	v_and_b32_e32 v10, 7, v8
	s_wait_alu 0xfffd
	v_cndmask_b32_e32 v6, v11, v6, vcc_lo
	v_cmp_ne_u32_e32 vcc_lo, 0, v2
	v_lshrrev_b32_e32 v8, 2, v8
	v_cmp_eq_u32_e64 s0, 3, v10
	s_delay_alu instid0(VALU_DEP_4)
	v_and_b32_e32 v11, 7, v6
	s_wait_alu 0xfffd
	v_cndmask_b32_e64 v2, 0, 1, vcc_lo
	v_cmp_ne_u32_e32 vcc_lo, 0, v4
	v_lshrrev_b32_e32 v6, 2, v6
	v_cmp_lt_i32_e64 s1, 5, v11
	v_cmp_eq_u32_e64 s2, 3, v11
	s_wait_alu 0xfffd
	v_cndmask_b32_e64 v4, 0, 1, vcc_lo
	v_cmp_lt_i32_e32 vcc_lo, 5, v10
	v_lshl_or_b32 v2, v2, 9, 0x7c00
	s_delay_alu instid0(VALU_DEP_3)
	v_lshl_or_b32 v4, v4, 9, 0x7c00
	s_or_b32 vcc_lo, s0, vcc_lo
	s_wait_alu 0xfffe
	v_add_co_ci_u32_e32 v8, vcc_lo, 0, v8, vcc_lo
	s_or_b32 vcc_lo, s2, s1
	s_wait_alu 0xfffe
	v_add_co_ci_u32_e32 v6, vcc_lo, 0, v6, vcc_lo
	v_cmp_gt_i32_e32 vcc_lo, 31, v7
	s_wait_alu 0xfffd
	v_cndmask_b32_e32 v8, 0x7c00, v8, vcc_lo
	v_cmp_gt_i32_e32 vcc_lo, 31, v9
	s_wait_alu 0xfffd
	v_cndmask_b32_e32 v6, 0x7c00, v6, vcc_lo
	v_cmp_eq_u32_e32 vcc_lo, 0x40f, v7
	s_wait_alu 0xfffd
	v_cndmask_b32_e32 v2, v8, v2, vcc_lo
	v_cmp_eq_u32_e32 vcc_lo, 0x40f, v9
	s_delay_alu instid0(VALU_DEP_2)
	v_and_or_b32 v2, 0x8000, v3, v2
	s_wait_alu 0xfffd
	v_cndmask_b32_e32 v4, v6, v4, vcc_lo
	v_add_co_u32 v0, vcc_lo, v0, s6
	s_wait_alu 0xfffd
	v_add_co_ci_u32_e32 v1, vcc_lo, s7, v1, vcc_lo
	v_and_b32_e32 v2, 0xffff, v2
	v_and_or_b32 v3, 0x8000, v5, v4
	s_delay_alu instid0(VALU_DEP_1)
	v_lshl_or_b32 v2, v3, 16, v2
	global_store_b32 v[0:1], v2, off
.LBB0_25:
	s_nop 0
	s_sendmsg sendmsg(MSG_DEALLOC_VGPRS)
	s_endpgm
	.section	.rodata,"a",@progbits
	.p2align	6, 0x0
	.amdhsa_kernel bluestein_single_back_len4704_dim1_half_op_CI_CI
		.amdhsa_group_segment_fixed_size 18816
		.amdhsa_private_segment_fixed_size 0
		.amdhsa_kernarg_size 104
		.amdhsa_user_sgpr_count 2
		.amdhsa_user_sgpr_dispatch_ptr 0
		.amdhsa_user_sgpr_queue_ptr 0
		.amdhsa_user_sgpr_kernarg_segment_ptr 1
		.amdhsa_user_sgpr_dispatch_id 0
		.amdhsa_user_sgpr_private_segment_size 0
		.amdhsa_wavefront_size32 1
		.amdhsa_uses_dynamic_stack 0
		.amdhsa_enable_private_segment 0
		.amdhsa_system_sgpr_workgroup_id_x 1
		.amdhsa_system_sgpr_workgroup_id_y 0
		.amdhsa_system_sgpr_workgroup_id_z 0
		.amdhsa_system_sgpr_workgroup_info 0
		.amdhsa_system_vgpr_workitem_id 0
		.amdhsa_next_free_vgpr 214
		.amdhsa_next_free_sgpr 17
		.amdhsa_reserve_vcc 1
		.amdhsa_float_round_mode_32 0
		.amdhsa_float_round_mode_16_64 0
		.amdhsa_float_denorm_mode_32 3
		.amdhsa_float_denorm_mode_16_64 3
		.amdhsa_fp16_overflow 0
		.amdhsa_workgroup_processor_mode 1
		.amdhsa_memory_ordered 1
		.amdhsa_forward_progress 0
		.amdhsa_round_robin_scheduling 0
		.amdhsa_exception_fp_ieee_invalid_op 0
		.amdhsa_exception_fp_denorm_src 0
		.amdhsa_exception_fp_ieee_div_zero 0
		.amdhsa_exception_fp_ieee_overflow 0
		.amdhsa_exception_fp_ieee_underflow 0
		.amdhsa_exception_fp_ieee_inexact 0
		.amdhsa_exception_int_div_zero 0
	.end_amdhsa_kernel
	.text
.Lfunc_end0:
	.size	bluestein_single_back_len4704_dim1_half_op_CI_CI, .Lfunc_end0-bluestein_single_back_len4704_dim1_half_op_CI_CI
                                        ; -- End function
	.section	.AMDGPU.csdata,"",@progbits
; Kernel info:
; codeLenInByte = 43568
; NumSgprs: 19
; NumVgprs: 214
; ScratchSize: 0
; MemoryBound: 0
; FloatMode: 240
; IeeeMode: 1
; LDSByteSize: 18816 bytes/workgroup (compile time only)
; SGPRBlocks: 2
; VGPRBlocks: 26
; NumSGPRsForWavesPerEU: 19
; NumVGPRsForWavesPerEU: 214
; Occupancy: 7
; WaveLimiterHint : 1
; COMPUTE_PGM_RSRC2:SCRATCH_EN: 0
; COMPUTE_PGM_RSRC2:USER_SGPR: 2
; COMPUTE_PGM_RSRC2:TRAP_HANDLER: 0
; COMPUTE_PGM_RSRC2:TGID_X_EN: 1
; COMPUTE_PGM_RSRC2:TGID_Y_EN: 0
; COMPUTE_PGM_RSRC2:TGID_Z_EN: 0
; COMPUTE_PGM_RSRC2:TIDIG_COMP_CNT: 0
	.text
	.p2alignl 7, 3214868480
	.fill 96, 4, 3214868480
	.type	__hip_cuid_21e15927a718bc,@object ; @__hip_cuid_21e15927a718bc
	.section	.bss,"aw",@nobits
	.globl	__hip_cuid_21e15927a718bc
__hip_cuid_21e15927a718bc:
	.byte	0                               ; 0x0
	.size	__hip_cuid_21e15927a718bc, 1

	.ident	"AMD clang version 19.0.0git (https://github.com/RadeonOpenCompute/llvm-project roc-6.4.0 25133 c7fe45cf4b819c5991fe208aaa96edf142730f1d)"
	.section	".note.GNU-stack","",@progbits
	.addrsig
	.addrsig_sym __hip_cuid_21e15927a718bc
	.amdgpu_metadata
---
amdhsa.kernels:
  - .args:
      - .actual_access:  read_only
        .address_space:  global
        .offset:         0
        .size:           8
        .value_kind:     global_buffer
      - .actual_access:  read_only
        .address_space:  global
        .offset:         8
        .size:           8
        .value_kind:     global_buffer
      - .actual_access:  read_only
        .address_space:  global
        .offset:         16
        .size:           8
        .value_kind:     global_buffer
      - .actual_access:  read_only
        .address_space:  global
        .offset:         24
        .size:           8
        .value_kind:     global_buffer
      - .actual_access:  read_only
        .address_space:  global
        .offset:         32
        .size:           8
        .value_kind:     global_buffer
      - .offset:         40
        .size:           8
        .value_kind:     by_value
      - .address_space:  global
        .offset:         48
        .size:           8
        .value_kind:     global_buffer
      - .address_space:  global
        .offset:         56
        .size:           8
        .value_kind:     global_buffer
      - .address_space:  global
        .offset:         64
        .size:           8
        .value_kind:     global_buffer
      - .address_space:  global
        .offset:         72
        .size:           8
        .value_kind:     global_buffer
      - .offset:         80
        .size:           4
        .value_kind:     by_value
      - .address_space:  global
        .offset:         88
        .size:           8
        .value_kind:     global_buffer
      - .address_space:  global
        .offset:         96
        .size:           8
        .value_kind:     global_buffer
    .group_segment_fixed_size: 18816
    .kernarg_segment_align: 8
    .kernarg_segment_size: 104
    .language:       OpenCL C
    .language_version:
      - 2
      - 0
    .max_flat_workgroup_size: 224
    .name:           bluestein_single_back_len4704_dim1_half_op_CI_CI
    .private_segment_fixed_size: 0
    .sgpr_count:     19
    .sgpr_spill_count: 0
    .symbol:         bluestein_single_back_len4704_dim1_half_op_CI_CI.kd
    .uniform_work_group_size: 1
    .uses_dynamic_stack: false
    .vgpr_count:     214
    .vgpr_spill_count: 0
    .wavefront_size: 32
    .workgroup_processor_mode: 1
amdhsa.target:   amdgcn-amd-amdhsa--gfx1201
amdhsa.version:
  - 1
  - 2
...

	.end_amdgpu_metadata
